;; amdgpu-corpus repo=ROCm/composable_kernel kind=compiled arch=gfx1100 opt=O3
	.text
	.amdgcn_target "amdgcn-amd-amdhsa--gfx1100"
	.amdhsa_code_object_version 6
	.section	.text._ZN2ckL12flush_icacheEv,"axG",@progbits,_ZN2ckL12flush_icacheEv,comdat
	.globl	_ZN2ckL12flush_icacheEv         ; -- Begin function _ZN2ckL12flush_icacheEv
	.p2align	8
	.type	_ZN2ckL12flush_icacheEv,@function
_ZN2ckL12flush_icacheEv:                ; @_ZN2ckL12flush_icacheEv
; %bb.0:
	;;#ASMSTART
	s_icache_inv 
	s_nop 0 
	s_nop 0 
	;; [unrolled: 1-line block ×16, first 2 shown]
	
	;;#ASMEND
	s_endpgm
	.section	.rodata,"a",@progbits
	.p2align	6, 0x0
	.amdhsa_kernel _ZN2ckL12flush_icacheEv
		.amdhsa_group_segment_fixed_size 0
		.amdhsa_private_segment_fixed_size 0
		.amdhsa_kernarg_size 0
		.amdhsa_user_sgpr_count 15
		.amdhsa_user_sgpr_dispatch_ptr 0
		.amdhsa_user_sgpr_queue_ptr 0
		.amdhsa_user_sgpr_kernarg_segment_ptr 0
		.amdhsa_user_sgpr_dispatch_id 0
		.amdhsa_user_sgpr_private_segment_size 0
		.amdhsa_wavefront_size32 1
		.amdhsa_uses_dynamic_stack 0
		.amdhsa_enable_private_segment 0
		.amdhsa_system_sgpr_workgroup_id_x 1
		.amdhsa_system_sgpr_workgroup_id_y 0
		.amdhsa_system_sgpr_workgroup_id_z 0
		.amdhsa_system_sgpr_workgroup_info 0
		.amdhsa_system_vgpr_workitem_id 0
		.amdhsa_next_free_vgpr 1
		.amdhsa_next_free_sgpr 1
		.amdhsa_reserve_vcc 0
		.amdhsa_float_round_mode_32 0
		.amdhsa_float_round_mode_16_64 0
		.amdhsa_float_denorm_mode_32 3
		.amdhsa_float_denorm_mode_16_64 3
		.amdhsa_dx10_clamp 1
		.amdhsa_ieee_mode 1
		.amdhsa_fp16_overflow 0
		.amdhsa_workgroup_processor_mode 1
		.amdhsa_memory_ordered 1
		.amdhsa_forward_progress 0
		.amdhsa_shared_vgpr_count 0
		.amdhsa_exception_fp_ieee_invalid_op 0
		.amdhsa_exception_fp_denorm_src 0
		.amdhsa_exception_fp_ieee_div_zero 0
		.amdhsa_exception_fp_ieee_overflow 0
		.amdhsa_exception_fp_ieee_underflow 0
		.amdhsa_exception_fp_ieee_inexact 0
		.amdhsa_exception_int_div_zero 0
	.end_amdhsa_kernel
	.section	.text._ZN2ckL12flush_icacheEv,"axG",@progbits,_ZN2ckL12flush_icacheEv,comdat
.Lfunc_end0:
	.size	_ZN2ckL12flush_icacheEv, .Lfunc_end0-_ZN2ckL12flush_icacheEv
                                        ; -- End function
	.section	.AMDGPU.csdata,"",@progbits
; Kernel info:
; codeLenInByte = 344
; NumSgprs: 0
; NumVgprs: 0
; ScratchSize: 0
; MemoryBound: 0
; FloatMode: 240
; IeeeMode: 1
; LDSByteSize: 0 bytes/workgroup (compile time only)
; SGPRBlocks: 0
; VGPRBlocks: 0
; NumSGPRsForWavesPerEU: 1
; NumVGPRsForWavesPerEU: 1
; Occupancy: 16
; WaveLimiterHint : 0
; COMPUTE_PGM_RSRC2:SCRATCH_EN: 0
; COMPUTE_PGM_RSRC2:USER_SGPR: 15
; COMPUTE_PGM_RSRC2:TRAP_HANDLER: 0
; COMPUTE_PGM_RSRC2:TGID_X_EN: 1
; COMPUTE_PGM_RSRC2:TGID_Y_EN: 0
; COMPUTE_PGM_RSRC2:TGID_Z_EN: 0
; COMPUTE_PGM_RSRC2:TIDIG_COMP_CNT: 0
	.section	.text._ZN2ck19kernel_gemm_dl_v1r3INS_28GridwiseGemmDl_km_kn_mn_v1r3ILi256EDF16_fDF16_LNS_25InMemoryDataOperationEnumE0ENS_16TensorDescriptorINS_5TupleIJNS_5EmbedINS4_IJiiEEENS4_IJNS_17integral_constantIiLi1EEEiEEELb0EEENS_7UnMergeINS4_IJiNS7_IiLi2EEEEEELb0EEENS_11PassThroughIiEEEEENS4_IJNS_8SequenceIJLi0EEEENSI_IJLi2EEEENSI_IJLi1EEEEEEENS4_IJNSI_IJLi1ELi2EEEENSI_IJLi3ELi4EEEENSI_IJLi5EEEEEEENSI_IJLi3ELi5ELi4EEEElEENS3_INS4_IJNS5_IS6_NS4_IJiS8_EEELb0EEESE_SG_EEENS4_IJSJ_SL_SK_EEESQ_SR_lEENS3_INS4_IJSU_SG_SG_EEESW_NS4_IJSN_NSI_IJLi3EEEENSI_IJLi4EEEEEEESO_lEELi128ELi128ELi16ELi2ELi4ELi4ELi1ENSI_IJLi8ELi2EEEES13_NSI_IJLi2ELi1ELi4ELi2EEEENSI_IJLi8ELi1ELi32ELi1EEEENSI_IJLi0ELi3ELi1ELi2EEEES16_NSI_IJLi1ELi1ELi4ELi1EEEES16_NSI_IJLi1ELi1ELi4ELi2EEEES14_S15_S16_S16_S17_S16_S18_NSI_IJLi0ELi1ELi2ELi3ELi4ELi5EEEELi5ELi4EEEDF16_DF16_NS3_INS4_IJSA_SE_SG_SG_NSB_INS4_IJiNS7_IiLi128EEEEEELb0EEENSF_ISC_EEEEENS4_IJSJ_SK_SL_SZ_SP_S10_EEENS4_IJSN_SO_SP_NSI_IJLi6EEEENSI_IJLi7ELi8EEEENSI_IJLi9EEEEEEENSI_IJLi6ELi7ELi8ELi9EEEElEENS3_INS4_IJSU_SE_SG_SG_S1D_S1E_EEENS4_IJSJ_SL_SK_SZ_SP_S10_EEES1K_S1L_lEENS3_INS4_IJSU_SG_SG_NSB_INS4_IJiSC_NS7_IiLi64EEEEEELb0EEES1S_EEENS4_IJSJ_SL_SK_SZ_S10_EEENS4_IJSN_SZ_S10_NSI_IJLi5ELi6ELi7EEEENSI_IJLi8ELi9ELi10EEEEEEENSI_IJLi5ELi6ELi7ELi8ELi9ELi10EEEElEENS_31BlockToCTileMap_M00_N00_M01_N01ILi128ELi128ES12_Lb0EEELb1ELb1EEEvPKT0_S24_PT1_T2_T3_T4_T5_,"axG",@progbits,_ZN2ck19kernel_gemm_dl_v1r3INS_28GridwiseGemmDl_km_kn_mn_v1r3ILi256EDF16_fDF16_LNS_25InMemoryDataOperationEnumE0ENS_16TensorDescriptorINS_5TupleIJNS_5EmbedINS4_IJiiEEENS4_IJNS_17integral_constantIiLi1EEEiEEELb0EEENS_7UnMergeINS4_IJiNS7_IiLi2EEEEEELb0EEENS_11PassThroughIiEEEEENS4_IJNS_8SequenceIJLi0EEEENSI_IJLi2EEEENSI_IJLi1EEEEEEENS4_IJNSI_IJLi1ELi2EEEENSI_IJLi3ELi4EEEENSI_IJLi5EEEEEEENSI_IJLi3ELi5ELi4EEEElEENS3_INS4_IJNS5_IS6_NS4_IJiS8_EEELb0EEESE_SG_EEENS4_IJSJ_SL_SK_EEESQ_SR_lEENS3_INS4_IJSU_SG_SG_EEESW_NS4_IJSN_NSI_IJLi3EEEENSI_IJLi4EEEEEEESO_lEELi128ELi128ELi16ELi2ELi4ELi4ELi1ENSI_IJLi8ELi2EEEES13_NSI_IJLi2ELi1ELi4ELi2EEEENSI_IJLi8ELi1ELi32ELi1EEEENSI_IJLi0ELi3ELi1ELi2EEEES16_NSI_IJLi1ELi1ELi4ELi1EEEES16_NSI_IJLi1ELi1ELi4ELi2EEEES14_S15_S16_S16_S17_S16_S18_NSI_IJLi0ELi1ELi2ELi3ELi4ELi5EEEELi5ELi4EEEDF16_DF16_NS3_INS4_IJSA_SE_SG_SG_NSB_INS4_IJiNS7_IiLi128EEEEEELb0EEENSF_ISC_EEEEENS4_IJSJ_SK_SL_SZ_SP_S10_EEENS4_IJSN_SO_SP_NSI_IJLi6EEEENSI_IJLi7ELi8EEEENSI_IJLi9EEEEEEENSI_IJLi6ELi7ELi8ELi9EEEElEENS3_INS4_IJSU_SE_SG_SG_S1D_S1E_EEENS4_IJSJ_SL_SK_SZ_SP_S10_EEES1K_S1L_lEENS3_INS4_IJSU_SG_SG_NSB_INS4_IJiSC_NS7_IiLi64EEEEEELb0EEES1S_EEENS4_IJSJ_SL_SK_SZ_S10_EEENS4_IJSN_SZ_S10_NSI_IJLi5ELi6ELi7EEEENSI_IJLi8ELi9ELi10EEEEEEENSI_IJLi5ELi6ELi7ELi8ELi9ELi10EEEElEENS_31BlockToCTileMap_M00_N00_M01_N01ILi128ELi128ES12_Lb0EEELb1ELb1EEEvPKT0_S24_PT1_T2_T3_T4_T5_,comdat
	.protected	_ZN2ck19kernel_gemm_dl_v1r3INS_28GridwiseGemmDl_km_kn_mn_v1r3ILi256EDF16_fDF16_LNS_25InMemoryDataOperationEnumE0ENS_16TensorDescriptorINS_5TupleIJNS_5EmbedINS4_IJiiEEENS4_IJNS_17integral_constantIiLi1EEEiEEELb0EEENS_7UnMergeINS4_IJiNS7_IiLi2EEEEEELb0EEENS_11PassThroughIiEEEEENS4_IJNS_8SequenceIJLi0EEEENSI_IJLi2EEEENSI_IJLi1EEEEEEENS4_IJNSI_IJLi1ELi2EEEENSI_IJLi3ELi4EEEENSI_IJLi5EEEEEEENSI_IJLi3ELi5ELi4EEEElEENS3_INS4_IJNS5_IS6_NS4_IJiS8_EEELb0EEESE_SG_EEENS4_IJSJ_SL_SK_EEESQ_SR_lEENS3_INS4_IJSU_SG_SG_EEESW_NS4_IJSN_NSI_IJLi3EEEENSI_IJLi4EEEEEEESO_lEELi128ELi128ELi16ELi2ELi4ELi4ELi1ENSI_IJLi8ELi2EEEES13_NSI_IJLi2ELi1ELi4ELi2EEEENSI_IJLi8ELi1ELi32ELi1EEEENSI_IJLi0ELi3ELi1ELi2EEEES16_NSI_IJLi1ELi1ELi4ELi1EEEES16_NSI_IJLi1ELi1ELi4ELi2EEEES14_S15_S16_S16_S17_S16_S18_NSI_IJLi0ELi1ELi2ELi3ELi4ELi5EEEELi5ELi4EEEDF16_DF16_NS3_INS4_IJSA_SE_SG_SG_NSB_INS4_IJiNS7_IiLi128EEEEEELb0EEENSF_ISC_EEEEENS4_IJSJ_SK_SL_SZ_SP_S10_EEENS4_IJSN_SO_SP_NSI_IJLi6EEEENSI_IJLi7ELi8EEEENSI_IJLi9EEEEEEENSI_IJLi6ELi7ELi8ELi9EEEElEENS3_INS4_IJSU_SE_SG_SG_S1D_S1E_EEENS4_IJSJ_SL_SK_SZ_SP_S10_EEES1K_S1L_lEENS3_INS4_IJSU_SG_SG_NSB_INS4_IJiSC_NS7_IiLi64EEEEEELb0EEES1S_EEENS4_IJSJ_SL_SK_SZ_S10_EEENS4_IJSN_SZ_S10_NSI_IJLi5ELi6ELi7EEEENSI_IJLi8ELi9ELi10EEEEEEENSI_IJLi5ELi6ELi7ELi8ELi9ELi10EEEElEENS_31BlockToCTileMap_M00_N00_M01_N01ILi128ELi128ES12_Lb0EEELb1ELb1EEEvPKT0_S24_PT1_T2_T3_T4_T5_ ; -- Begin function _ZN2ck19kernel_gemm_dl_v1r3INS_28GridwiseGemmDl_km_kn_mn_v1r3ILi256EDF16_fDF16_LNS_25InMemoryDataOperationEnumE0ENS_16TensorDescriptorINS_5TupleIJNS_5EmbedINS4_IJiiEEENS4_IJNS_17integral_constantIiLi1EEEiEEELb0EEENS_7UnMergeINS4_IJiNS7_IiLi2EEEEEELb0EEENS_11PassThroughIiEEEEENS4_IJNS_8SequenceIJLi0EEEENSI_IJLi2EEEENSI_IJLi1EEEEEEENS4_IJNSI_IJLi1ELi2EEEENSI_IJLi3ELi4EEEENSI_IJLi5EEEEEEENSI_IJLi3ELi5ELi4EEEElEENS3_INS4_IJNS5_IS6_NS4_IJiS8_EEELb0EEESE_SG_EEENS4_IJSJ_SL_SK_EEESQ_SR_lEENS3_INS4_IJSU_SG_SG_EEESW_NS4_IJSN_NSI_IJLi3EEEENSI_IJLi4EEEEEEESO_lEELi128ELi128ELi16ELi2ELi4ELi4ELi1ENSI_IJLi8ELi2EEEES13_NSI_IJLi2ELi1ELi4ELi2EEEENSI_IJLi8ELi1ELi32ELi1EEEENSI_IJLi0ELi3ELi1ELi2EEEES16_NSI_IJLi1ELi1ELi4ELi1EEEES16_NSI_IJLi1ELi1ELi4ELi2EEEES14_S15_S16_S16_S17_S16_S18_NSI_IJLi0ELi1ELi2ELi3ELi4ELi5EEEELi5ELi4EEEDF16_DF16_NS3_INS4_IJSA_SE_SG_SG_NSB_INS4_IJiNS7_IiLi128EEEEEELb0EEENSF_ISC_EEEEENS4_IJSJ_SK_SL_SZ_SP_S10_EEENS4_IJSN_SO_SP_NSI_IJLi6EEEENSI_IJLi7ELi8EEEENSI_IJLi9EEEEEEENSI_IJLi6ELi7ELi8ELi9EEEElEENS3_INS4_IJSU_SE_SG_SG_S1D_S1E_EEENS4_IJSJ_SL_SK_SZ_SP_S10_EEES1K_S1L_lEENS3_INS4_IJSU_SG_SG_NSB_INS4_IJiSC_NS7_IiLi64EEEEEELb0EEES1S_EEENS4_IJSJ_SL_SK_SZ_S10_EEENS4_IJSN_SZ_S10_NSI_IJLi5ELi6ELi7EEEENSI_IJLi8ELi9ELi10EEEEEEENSI_IJLi5ELi6ELi7ELi8ELi9ELi10EEEElEENS_31BlockToCTileMap_M00_N00_M01_N01ILi128ELi128ES12_Lb0EEELb1ELb1EEEvPKT0_S24_PT1_T2_T3_T4_T5_
	.globl	_ZN2ck19kernel_gemm_dl_v1r3INS_28GridwiseGemmDl_km_kn_mn_v1r3ILi256EDF16_fDF16_LNS_25InMemoryDataOperationEnumE0ENS_16TensorDescriptorINS_5TupleIJNS_5EmbedINS4_IJiiEEENS4_IJNS_17integral_constantIiLi1EEEiEEELb0EEENS_7UnMergeINS4_IJiNS7_IiLi2EEEEEELb0EEENS_11PassThroughIiEEEEENS4_IJNS_8SequenceIJLi0EEEENSI_IJLi2EEEENSI_IJLi1EEEEEEENS4_IJNSI_IJLi1ELi2EEEENSI_IJLi3ELi4EEEENSI_IJLi5EEEEEEENSI_IJLi3ELi5ELi4EEEElEENS3_INS4_IJNS5_IS6_NS4_IJiS8_EEELb0EEESE_SG_EEENS4_IJSJ_SL_SK_EEESQ_SR_lEENS3_INS4_IJSU_SG_SG_EEESW_NS4_IJSN_NSI_IJLi3EEEENSI_IJLi4EEEEEEESO_lEELi128ELi128ELi16ELi2ELi4ELi4ELi1ENSI_IJLi8ELi2EEEES13_NSI_IJLi2ELi1ELi4ELi2EEEENSI_IJLi8ELi1ELi32ELi1EEEENSI_IJLi0ELi3ELi1ELi2EEEES16_NSI_IJLi1ELi1ELi4ELi1EEEES16_NSI_IJLi1ELi1ELi4ELi2EEEES14_S15_S16_S16_S17_S16_S18_NSI_IJLi0ELi1ELi2ELi3ELi4ELi5EEEELi5ELi4EEEDF16_DF16_NS3_INS4_IJSA_SE_SG_SG_NSB_INS4_IJiNS7_IiLi128EEEEEELb0EEENSF_ISC_EEEEENS4_IJSJ_SK_SL_SZ_SP_S10_EEENS4_IJSN_SO_SP_NSI_IJLi6EEEENSI_IJLi7ELi8EEEENSI_IJLi9EEEEEEENSI_IJLi6ELi7ELi8ELi9EEEElEENS3_INS4_IJSU_SE_SG_SG_S1D_S1E_EEENS4_IJSJ_SL_SK_SZ_SP_S10_EEES1K_S1L_lEENS3_INS4_IJSU_SG_SG_NSB_INS4_IJiSC_NS7_IiLi64EEEEEELb0EEES1S_EEENS4_IJSJ_SL_SK_SZ_S10_EEENS4_IJSN_SZ_S10_NSI_IJLi5ELi6ELi7EEEENSI_IJLi8ELi9ELi10EEEEEEENSI_IJLi5ELi6ELi7ELi8ELi9ELi10EEEElEENS_31BlockToCTileMap_M00_N00_M01_N01ILi128ELi128ES12_Lb0EEELb1ELb1EEEvPKT0_S24_PT1_T2_T3_T4_T5_
	.p2align	8
	.type	_ZN2ck19kernel_gemm_dl_v1r3INS_28GridwiseGemmDl_km_kn_mn_v1r3ILi256EDF16_fDF16_LNS_25InMemoryDataOperationEnumE0ENS_16TensorDescriptorINS_5TupleIJNS_5EmbedINS4_IJiiEEENS4_IJNS_17integral_constantIiLi1EEEiEEELb0EEENS_7UnMergeINS4_IJiNS7_IiLi2EEEEEELb0EEENS_11PassThroughIiEEEEENS4_IJNS_8SequenceIJLi0EEEENSI_IJLi2EEEENSI_IJLi1EEEEEEENS4_IJNSI_IJLi1ELi2EEEENSI_IJLi3ELi4EEEENSI_IJLi5EEEEEEENSI_IJLi3ELi5ELi4EEEElEENS3_INS4_IJNS5_IS6_NS4_IJiS8_EEELb0EEESE_SG_EEENS4_IJSJ_SL_SK_EEESQ_SR_lEENS3_INS4_IJSU_SG_SG_EEESW_NS4_IJSN_NSI_IJLi3EEEENSI_IJLi4EEEEEEESO_lEELi128ELi128ELi16ELi2ELi4ELi4ELi1ENSI_IJLi8ELi2EEEES13_NSI_IJLi2ELi1ELi4ELi2EEEENSI_IJLi8ELi1ELi32ELi1EEEENSI_IJLi0ELi3ELi1ELi2EEEES16_NSI_IJLi1ELi1ELi4ELi1EEEES16_NSI_IJLi1ELi1ELi4ELi2EEEES14_S15_S16_S16_S17_S16_S18_NSI_IJLi0ELi1ELi2ELi3ELi4ELi5EEEELi5ELi4EEEDF16_DF16_NS3_INS4_IJSA_SE_SG_SG_NSB_INS4_IJiNS7_IiLi128EEEEEELb0EEENSF_ISC_EEEEENS4_IJSJ_SK_SL_SZ_SP_S10_EEENS4_IJSN_SO_SP_NSI_IJLi6EEEENSI_IJLi7ELi8EEEENSI_IJLi9EEEEEEENSI_IJLi6ELi7ELi8ELi9EEEElEENS3_INS4_IJSU_SE_SG_SG_S1D_S1E_EEENS4_IJSJ_SL_SK_SZ_SP_S10_EEES1K_S1L_lEENS3_INS4_IJSU_SG_SG_NSB_INS4_IJiSC_NS7_IiLi64EEEEEELb0EEES1S_EEENS4_IJSJ_SL_SK_SZ_S10_EEENS4_IJSN_SZ_S10_NSI_IJLi5ELi6ELi7EEEENSI_IJLi8ELi9ELi10EEEEEEENSI_IJLi5ELi6ELi7ELi8ELi9ELi10EEEElEENS_31BlockToCTileMap_M00_N00_M01_N01ILi128ELi128ES12_Lb0EEELb1ELb1EEEvPKT0_S24_PT1_T2_T3_T4_T5_,@function
_ZN2ck19kernel_gemm_dl_v1r3INS_28GridwiseGemmDl_km_kn_mn_v1r3ILi256EDF16_fDF16_LNS_25InMemoryDataOperationEnumE0ENS_16TensorDescriptorINS_5TupleIJNS_5EmbedINS4_IJiiEEENS4_IJNS_17integral_constantIiLi1EEEiEEELb0EEENS_7UnMergeINS4_IJiNS7_IiLi2EEEEEELb0EEENS_11PassThroughIiEEEEENS4_IJNS_8SequenceIJLi0EEEENSI_IJLi2EEEENSI_IJLi1EEEEEEENS4_IJNSI_IJLi1ELi2EEEENSI_IJLi3ELi4EEEENSI_IJLi5EEEEEEENSI_IJLi3ELi5ELi4EEEElEENS3_INS4_IJNS5_IS6_NS4_IJiS8_EEELb0EEESE_SG_EEENS4_IJSJ_SL_SK_EEESQ_SR_lEENS3_INS4_IJSU_SG_SG_EEESW_NS4_IJSN_NSI_IJLi3EEEENSI_IJLi4EEEEEEESO_lEELi128ELi128ELi16ELi2ELi4ELi4ELi1ENSI_IJLi8ELi2EEEES13_NSI_IJLi2ELi1ELi4ELi2EEEENSI_IJLi8ELi1ELi32ELi1EEEENSI_IJLi0ELi3ELi1ELi2EEEES16_NSI_IJLi1ELi1ELi4ELi1EEEES16_NSI_IJLi1ELi1ELi4ELi2EEEES14_S15_S16_S16_S17_S16_S18_NSI_IJLi0ELi1ELi2ELi3ELi4ELi5EEEELi5ELi4EEEDF16_DF16_NS3_INS4_IJSA_SE_SG_SG_NSB_INS4_IJiNS7_IiLi128EEEEEELb0EEENSF_ISC_EEEEENS4_IJSJ_SK_SL_SZ_SP_S10_EEENS4_IJSN_SO_SP_NSI_IJLi6EEEENSI_IJLi7ELi8EEEENSI_IJLi9EEEEEEENSI_IJLi6ELi7ELi8ELi9EEEElEENS3_INS4_IJSU_SE_SG_SG_S1D_S1E_EEENS4_IJSJ_SL_SK_SZ_SP_S10_EEES1K_S1L_lEENS3_INS4_IJSU_SG_SG_NSB_INS4_IJiSC_NS7_IiLi64EEEEEELb0EEES1S_EEENS4_IJSJ_SL_SK_SZ_S10_EEENS4_IJSN_SZ_S10_NSI_IJLi5ELi6ELi7EEEENSI_IJLi8ELi9ELi10EEEEEEENSI_IJLi5ELi6ELi7ELi8ELi9ELi10EEEElEENS_31BlockToCTileMap_M00_N00_M01_N01ILi128ELi128ES12_Lb0EEELb1ELb1EEEvPKT0_S24_PT1_T2_T3_T4_T5_: ; @_ZN2ck19kernel_gemm_dl_v1r3INS_28GridwiseGemmDl_km_kn_mn_v1r3ILi256EDF16_fDF16_LNS_25InMemoryDataOperationEnumE0ENS_16TensorDescriptorINS_5TupleIJNS_5EmbedINS4_IJiiEEENS4_IJNS_17integral_constantIiLi1EEEiEEELb0EEENS_7UnMergeINS4_IJiNS7_IiLi2EEEEEELb0EEENS_11PassThroughIiEEEEENS4_IJNS_8SequenceIJLi0EEEENSI_IJLi2EEEENSI_IJLi1EEEEEEENS4_IJNSI_IJLi1ELi2EEEENSI_IJLi3ELi4EEEENSI_IJLi5EEEEEEENSI_IJLi3ELi5ELi4EEEElEENS3_INS4_IJNS5_IS6_NS4_IJiS8_EEELb0EEESE_SG_EEENS4_IJSJ_SL_SK_EEESQ_SR_lEENS3_INS4_IJSU_SG_SG_EEESW_NS4_IJSN_NSI_IJLi3EEEENSI_IJLi4EEEEEEESO_lEELi128ELi128ELi16ELi2ELi4ELi4ELi1ENSI_IJLi8ELi2EEEES13_NSI_IJLi2ELi1ELi4ELi2EEEENSI_IJLi8ELi1ELi32ELi1EEEENSI_IJLi0ELi3ELi1ELi2EEEES16_NSI_IJLi1ELi1ELi4ELi1EEEES16_NSI_IJLi1ELi1ELi4ELi2EEEES14_S15_S16_S16_S17_S16_S18_NSI_IJLi0ELi1ELi2ELi3ELi4ELi5EEEELi5ELi4EEEDF16_DF16_NS3_INS4_IJSA_SE_SG_SG_NSB_INS4_IJiNS7_IiLi128EEEEEELb0EEENSF_ISC_EEEEENS4_IJSJ_SK_SL_SZ_SP_S10_EEENS4_IJSN_SO_SP_NSI_IJLi6EEEENSI_IJLi7ELi8EEEENSI_IJLi9EEEEEEENSI_IJLi6ELi7ELi8ELi9EEEElEENS3_INS4_IJSU_SE_SG_SG_S1D_S1E_EEENS4_IJSJ_SL_SK_SZ_SP_S10_EEES1K_S1L_lEENS3_INS4_IJSU_SG_SG_NSB_INS4_IJiSC_NS7_IiLi64EEEEEELb0EEES1S_EEENS4_IJSJ_SL_SK_SZ_S10_EEENS4_IJSN_SZ_S10_NSI_IJLi5ELi6ELi7EEEENSI_IJLi8ELi9ELi10EEEEEEENSI_IJLi5ELi6ELi7ELi8ELi9ELi10EEEElEENS_31BlockToCTileMap_M00_N00_M01_N01ILi128ELi128ES12_Lb0EEELb1ELb1EEEvPKT0_S24_PT1_T2_T3_T4_T5_
; %bb.0:
	s_clause 0xd
	s_load_b128 s[8:11], s[0:1], 0x11c
	s_load_b128 s[16:19], s[0:1], 0x130
	s_load_b32 s14, s[0:1], 0x24
	s_load_b32 s29, s[0:1], 0x38
	;; [unrolled: 1-line block ×4, first 2 shown]
	s_load_b128 s[24:27], s[0:1], 0x108
	s_load_b128 s[20:23], s[0:1], 0x0
	s_load_b64 s[4:5], s[0:1], 0x10
	s_load_b32 s28, s[0:1], 0x60
	s_load_b32 s30, s[0:1], 0x90
	;; [unrolled: 1-line block ×3, first 2 shown]
	s_load_b64 s[6:7], s[0:1], 0xd0
	s_load_b32 s0, s[0:1], 0xec
	v_lshrrev_b32_e32 v1, 4, v0
	v_dual_mov_b32 v73, 0 :: v_dual_lshlrev_b32 v6, 2, v0
	v_dual_mov_b32 v44, 0 :: v_dual_mov_b32 v75, 0
	s_delay_alu instid0(VALU_DEP_3) | instskip(NEXT) | instid1(VALU_DEP_3)
	v_and_b32_e32 v7, 14, v1
	v_and_b32_e32 v8, 0x7c, v6
	v_mov_b32_e32 v72, 0
	s_mov_b32 s3, 0x31004000
	s_delay_alu instid0(VALU_DEP_3)
	v_dual_mov_b32 v70, 0 :: v_dual_lshlrev_b32 v5, 1, v7
	v_mov_b32_e32 v77, 0
	v_dual_mov_b32 v81, 0 :: v_dual_mov_b32 v66, 0
	v_mov_b32_e32 v91, 0
	s_waitcnt lgkmcnt(0)
	s_lshl_b32 s2, s2, 1
	s_mul_hi_u32 s1, s11, s15
	s_mov_b32 s11, s3
	s_add_i32 s1, s15, s1
	v_dual_mov_b32 v82, 0 :: v_dual_mov_b32 v97, 0
	s_lshr_b32 s1, s1, s19
	v_dual_mov_b32 v80, 0 :: v_dual_mov_b32 v99, 0
	s_mul_hi_u32 s7, s1, s10
	s_mul_i32 s10, s1, s27
	s_add_i32 s7, s1, s7
	s_sub_i32 s10, s15, s10
	s_lshr_b32 s7, s7, s18
	v_dual_mov_b32 v84, 0 :: v_dual_mov_b32 v93, 0
	s_mul_hi_u32 s9, s7, s9
	s_mul_i32 s15, s7, s26
	s_add_i32 s9, s7, s9
	s_sub_i32 s33, s1, s15
	s_lshr_b32 s9, s9, s17
	s_lshl_b32 s15, s14, 1
	s_mul_hi_u32 s1, s9, s8
	s_mul_i32 s8, s9, s25
	s_add_i32 s1, s9, s1
	s_sub_i32 s7, s7, s8
	s_lshr_b32 s1, s1, s16
	s_mul_i32 s7, s7, s13
	s_mul_i32 s1, s1, s24
	s_add_i32 s24, s10, s7
	s_sub_i32 s1, s9, s1
	s_lshl_b32 s7, s24, 7
	s_mul_i32 s1, s1, s0
	v_or_b32_e32 v1, s7, v8
	s_add_i32 s33, s33, s1
	s_lshl_b32 s16, s28, 1
	s_lshl_b32 s13, s33, 7
	;; [unrolled: 1-line block ×3, first 2 shown]
	v_mad_u64_u32 v[2:3], null, s28, v5, v[1:2]
	v_or_b32_e32 v1, s13, v8
	s_mov_b32 s8, s22
	v_mov_b32_e32 v74, 0
	s_mov_b32 s9, s23
	v_mov_b32_e32 v65, 0
	s_mov_b32 s0, s20
	s_delay_alu instid0(VALU_DEP_4) | instskip(SKIP_4) | instid1(VALU_DEP_4)
	v_mad_u64_u32 v[3:4], null, s14, v5, v[1:2]
	v_add_nc_u32_e32 v1, s28, v2
	v_lshlrev_b32_e32 v4, 1, v2
	v_add_lshl_u32 v9, s16, v2, 1
	v_dual_mov_b32 v79, 0 :: v_dual_mov_b32 v68, 0
	v_lshlrev_b32_e32 v5, 1, v1
	v_add_nc_u32_e32 v10, s14, v3
	v_add_lshl_u32 v1, v1, s16, 1
	v_dual_mov_b32 v64, 0 :: v_dual_lshlrev_b32 v11, 1, v3
	v_add_lshl_u32 v14, s15, v3, 1
	s_delay_alu instid0(VALU_DEP_4)
	v_dual_mov_b32 v89, 0 :: v_dual_lshlrev_b32 v12, 1, v10
	s_clause 0x3
	buffer_load_b64 v[2:3], v4, s[8:11], 0 offen
	buffer_load_b64 v[4:5], v5, s[8:11], 0 offen
	;; [unrolled: 1-line block ×4, first 2 shown]
	v_add_lshl_u32 v1, v10, s15, 1
	s_mov_b32 s1, s21
	s_clause 0x3
	buffer_load_b64 v[10:11], v11, s[0:3], 0 offen
	buffer_load_b64 v[12:13], v12, s[0:3], 0 offen
	buffer_load_b64 v[25:26], v1, s[0:3], 0 offen
	buffer_load_b64 v[27:28], v14, s[0:3], 0 offen
	v_lshrrev_b32_e32 v1, 5, v0
	v_lshlrev_b32_e32 v9, 1, v0
	v_dual_mov_b32 v87, 0 :: v_dual_mov_b32 v76, 0
	v_lshlrev_b32_e32 v8, 2, v8
	s_delay_alu instid0(VALU_DEP_4) | instskip(NEXT) | instid1(VALU_DEP_4)
	v_lshlrev_b32_e32 v14, 6, v1
	v_and_b32_e32 v15, 0x1f8, v9
	v_dual_mov_b32 v78, 0 :: v_dual_and_b32 v9, 0x1fc, v9
	v_and_b32_e32 v0, 31, v0
	v_lshl_or_b32 v112, v7, 9, v8
	s_delay_alu instid0(VALU_DEP_4) | instskip(NEXT) | instid1(VALU_DEP_4)
	v_sub_nc_u32_e32 v14, v15, v14
	v_sub_nc_u32_e32 v9, v9, v15
	v_dual_mov_b32 v88, 0 :: v_dual_mov_b32 v95, 0
	v_dual_mov_b32 v90, 0 :: v_dual_mov_b32 v101, 0
	s_delay_alu instid0(VALU_DEP_4)
	v_and_or_b32 v108, v6, 4, v14
	v_mad_u64_u32 v[6:7], null, s28, v1, v[0:1]
	v_mad_u64_u32 v[7:8], null, s14, v1, v[0:1]
	v_lshl_add_u32 v109, v1, 3, v9
	v_dual_mov_b32 v96, 0 :: v_dual_mov_b32 v103, 0
	v_dual_mov_b32 v98, 0 :: v_dual_mov_b32 v105, 0
	;; [unrolled: 1-line block ×18, first 2 shown]
	v_or_b32_e32 v17, 0x4000, v112
	v_lshlrev_b32_e32 v110, 2, v109
	v_lshlrev_b32_e32 v111, 2, v108
	v_or_b32_e32 v113, 0x2000, v112
	v_or_b32_e32 v114, 0x6000, v112
	v_lshlrev_b32_e32 v19, 3, v6
	v_lshlrev_b32_e32 v20, 3, v7
	v_lshl_add_u32 v16, v6, 2, s7
	v_lshl_add_u32 v18, v7, 2, s13
	s_sub_i32 s18, s29, 32
	s_lshl_b32 s19, s28, 6
	s_mul_i32 s23, s28, 0x84
	s_lshl_b32 s20, s28, 7
	s_mul_i32 s25, s28, 0x86
	s_mul_i32 s26, s28, 0x82
	;; [unrolled: 1-line block ×5, first 2 shown]
	s_lshl_b32 s21, s14, 6
	s_mul_i32 s34, s14, 0x84
	s_lshl_b32 s22, s14, 7
	s_mul_i32 s35, s14, 0x86
	s_mul_i32 s36, s14, 0x82
	;; [unrolled: 1-line block ×5, first 2 shown]
	s_lshl_b32 s31, s24, 8
	s_lshl_b32 s40, s33, 8
	s_mov_b32 s17, 0
	s_add_i32 s23, s31, s23
	s_add_i32 s24, s31, s25
	;; [unrolled: 1-line block ×16, first 2 shown]
	s_waitcnt vmcnt(6)
	v_perm_b32 v1, v4, v2, 0x7060302
	v_perm_b32 v0, v4, v2, 0x5040100
	v_perm_b32 v2, v5, v3, 0x5040100
	s_waitcnt vmcnt(2)
	v_perm_b32 v9, v12, v10, 0x7060302
	v_perm_b32 v8, v12, v10, 0x5040100
	;; [unrolled: 1-line block ×4, first 2 shown]
	s_waitcnt vmcnt(0)
	v_perm_b32 v15, v26, v28, 0x7060302
	v_perm_b32 v13, v25, v27, 0x7060302
	;; [unrolled: 1-line block ×9, first 2 shown]
	ds_store_b128 v112, v[8:11]
	ds_store_b128 v112, v[12:15] offset:512
	ds_store_b128 v112, v[0:3] offset:16384
	;; [unrolled: 1-line block ×3, first 2 shown]
.LBB1_1:                                ; =>This Inner Loop Header: Depth=1
	v_add_nc_u32_e32 v0, s40, v20
	v_add_nc_u32_e32 v1, s39, v20
	;; [unrolled: 1-line block ×8, first 2 shown]
	s_clause 0x3
	buffer_load_b64 v[12:13], v0, s[0:3], 0 offen
	buffer_load_b64 v[14:15], v1, s[0:3], 0 offen
	;; [unrolled: 1-line block ×4, first 2 shown]
	s_clause 0x3
	buffer_load_b64 v[4:5], v4, s[8:11], 0 offen
	buffer_load_b64 v[6:7], v6, s[8:11], 0 offen
	buffer_load_b64 v[0:1], v21, s[8:11], 0 offen
	buffer_load_b64 v[2:3], v22, s[8:11], 0 offen
	s_waitcnt vmcnt(0) lgkmcnt(0)
	s_barrier
	ds_load_b128 v[31:34], v111 offset:16384
	ds_load_b128 v[35:38], v110
	ds_load_b128 v[39:42], v111 offset:16640
	ds_load_b128 v[115:118], v110 offset:256
	;; [unrolled: 1-line block ×18, first 2 shown]
	s_waitcnt lgkmcnt(18)
	v_dual_dot2acc_f32_f16 v92, v36, v34 :: v_dual_add_nc_u32 v29, s36, v20
	v_dual_dot2acc_f32_f16 v89, v37, v34 :: v_dual_add_nc_u32 v30, s35, v20
	;; [unrolled: 1-line block ×4, first 2 shown]
	s_waitcnt lgkmcnt(17)
	v_dual_dot2acc_f32_f16 v101, v35, v41 :: v_dual_add_nc_u32 v24, s26, v19
	v_dual_dot2acc_f32_f16 v88, v37, v32 :: v_dual_add_nc_u32 v25, s25, v19
	;; [unrolled: 1-line block ×6, first 2 shown]
	v_dot2acc_f32_f16 v107, v35, v31
	v_dot2acc_f32_f16 v105, v35, v32
	;; [unrolled: 1-line block ×3, first 2 shown]
	v_dual_dot2acc_f32_f16 v104, v35, v34 :: v_dual_dot2acc_f32_f16 v95, v36, v31
	v_dot2acc_f32_f16 v93, v36, v32
	v_dot2acc_f32_f16 v94, v36, v33
	v_dual_dot2acc_f32_f16 v91, v37, v33 :: v_dual_dot2acc_f32_f16 v66, v38, v31
	v_dual_dot2acc_f32_f16 v79, v37, v42 :: v_dual_dot2acc_f32_f16 v68, v38, v33
	s_waitcnt lgkmcnt(16)
	v_dot2acc_f32_f16 v45, v115, v32
	v_dual_dot2acc_f32_f16 v102, v35, v40 :: v_dual_dot2acc_f32_f16 v75, v38, v39
	v_dual_dot2acc_f32_f16 v100, v35, v42 :: v_dual_dot2acc_f32_f16 v73, v38, v40
	v_dual_dot2acc_f32_f16 v98, v36, v41 :: v_dual_dot2acc_f32_f16 v47, v115, v34
	v_dual_dot2acc_f32_f16 v96, v36, v42 :: v_dual_dot2acc_f32_f16 v61, v117, v31
	v_dual_dot2acc_f32_f16 v84, v37, v39 :: v_dual_dot2acc_f32_f16 v57, v116, v32
	v_dual_dot2acc_f32_f16 v80, v37, v40 :: v_dual_dot2acc_f32_f16 v59, v116, v34
	v_dual_dot2acc_f32_f16 v82, v37, v41 :: v_dual_dot2acc_f32_f16 v85, v118, v31
	v_dual_dot2acc_f32_f16 v74, v38, v41 :: v_dual_dot2acc_f32_f16 v63, v117, v34
	v_dual_dot2acc_f32_f16 v72, v38, v42 :: v_dual_dot2acc_f32_f16 v49, v115, v40
	v_dual_dot2acc_f32_f16 v44, v115, v31 :: v_dual_dot2acc_f32_f16 v83, v118, v32
	v_dual_dot2acc_f32_f16 v46, v115, v33 :: v_dual_dot2acc_f32_f16 v87, v118, v34
	v_dual_dot2acc_f32_f16 v56, v116, v31 :: v_dual_dot2acc_f32_f16 v51, v115, v42
	v_dual_dot2acc_f32_f16 v58, v116, v33 :: v_dual_dot2acc_f32_f16 v69, v117, v39
	v_dual_dot2acc_f32_f16 v60, v117, v32 :: v_dual_dot2acc_f32_f16 v53, v116, v39
	v_dual_dot2acc_f32_f16 v62, v117, v33 :: v_dual_dot2acc_f32_f16 v55, v116, v42
	v_dual_dot2acc_f32_f16 v86, v118, v33 :: v_dual_dot2acc_f32_f16 v67, v117, v40
	v_dual_dot2acc_f32_f16 v48, v115, v39 :: v_dual_dot2acc_f32_f16 v71, v117, v42
	v_dual_dot2acc_f32_f16 v50, v115, v41 :: v_dual_dot2acc_f32_f16 v77, v118, v40
	v_dual_dot2acc_f32_f16 v52, v116, v40 :: v_dual_dot2acc_f32_f16 v81, v118, v42
	s_waitcnt lgkmcnt(13)
	v_dual_dot2acc_f32_f16 v54, v116, v41 :: v_dual_dot2acc_f32_f16 v107, v127, v119
	v_dual_dot2acc_f32_f16 v70, v117, v41 :: v_dual_dot2acc_f32_f16 v105, v127, v120
	v_dual_dot2acc_f32_f16 v76, v118, v39 :: v_dual_dot2acc_f32_f16 v93, v128, v120
	v_dual_dot2acc_f32_f16 v78, v118, v41 :: v_dual_dot2acc_f32_f16 v95, v128, v119
	ds_load_b128 v[35:38], v111 offset:18944
	ds_load_b128 v[31:34], v111 offset:19200
	ds_load_b128 v[39:42], v110 offset:2560
	ds_load_b128 v[115:118], v110 offset:2816
	v_dual_dot2acc_f32_f16 v106, v127, v121 :: v_dual_dot2acc_f32_f16 v89, v129, v122
	v_dual_dot2acc_f32_f16 v104, v127, v122 :: v_dual_dot2acc_f32_f16 v91, v129, v121
	v_dual_dot2acc_f32_f16 v94, v128, v121 :: v_dual_dot2acc_f32_f16 v65, v130, v122
	v_dual_dot2acc_f32_f16 v92, v128, v122 :: v_dual_dot2acc_f32_f16 v103, v127, v123
	v_dual_dot2acc_f32_f16 v90, v129, v119 :: v_dual_dot2acc_f32_f16 v101, v127, v125
	v_dual_dot2acc_f32_f16 v88, v129, v120 :: v_dual_dot2acc_f32_f16 v99, v128, v123
	v_dual_dot2acc_f32_f16 v66, v130, v119 :: v_dual_dot2acc_f32_f16 v97, v128, v124
	v_dual_dot2acc_f32_f16 v64, v130, v120 :: v_dual_dot2acc_f32_f16 v79, v129, v126
	s_waitcnt lgkmcnt(16)
	v_dual_dot2acc_f32_f16 v68, v130, v121 :: v_dual_dot2acc_f32_f16 v45, v131, v120
	v_dual_dot2acc_f32_f16 v102, v127, v124 :: v_dual_dot2acc_f32_f16 v75, v130, v123
	v_dual_dot2acc_f32_f16 v100, v127, v126 :: v_dual_dot2acc_f32_f16 v73, v130, v124
	v_dual_dot2acc_f32_f16 v98, v128, v125 :: v_dual_dot2acc_f32_f16 v47, v131, v122
	v_dual_dot2acc_f32_f16 v96, v128, v126 :: v_dual_dot2acc_f32_f16 v61, v133, v119
	v_dual_dot2acc_f32_f16 v84, v129, v123 :: v_dual_dot2acc_f32_f16 v57, v132, v120
	v_dual_dot2acc_f32_f16 v80, v129, v124 :: v_dual_dot2acc_f32_f16 v59, v132, v122
	v_dual_dot2acc_f32_f16 v82, v129, v125 :: v_dual_dot2acc_f32_f16 v85, v134, v119
	v_dual_dot2acc_f32_f16 v74, v130, v125 :: v_dual_dot2acc_f32_f16 v63, v133, v122
	v_dual_dot2acc_f32_f16 v72, v130, v126 :: v_dual_dot2acc_f32_f16 v49, v131, v124
	v_dual_dot2acc_f32_f16 v44, v131, v119 :: v_dual_dot2acc_f32_f16 v83, v134, v120
	v_dual_dot2acc_f32_f16 v46, v131, v121 :: v_dual_dot2acc_f32_f16 v87, v134, v122
	v_dual_dot2acc_f32_f16 v56, v132, v119 :: v_dual_dot2acc_f32_f16 v51, v131, v126
	v_dual_dot2acc_f32_f16 v58, v132, v121 :: v_dual_dot2acc_f32_f16 v69, v133, v123
	v_dual_dot2acc_f32_f16 v60, v133, v120 :: v_dual_dot2acc_f32_f16 v53, v132, v123
	v_dual_dot2acc_f32_f16 v62, v133, v121 :: v_dual_dot2acc_f32_f16 v55, v132, v126
	v_dual_dot2acc_f32_f16 v86, v134, v121 :: v_dual_dot2acc_f32_f16 v67, v133, v124
	v_dual_dot2acc_f32_f16 v48, v131, v123 :: v_dual_dot2acc_f32_f16 v71, v133, v126
	v_dual_dot2acc_f32_f16 v50, v131, v125 :: v_dual_dot2acc_f32_f16 v77, v134, v124
	v_dual_dot2acc_f32_f16 v52, v132, v124 :: v_dual_dot2acc_f32_f16 v81, v134, v126
	s_waitcnt lgkmcnt(13)
	v_dual_dot2acc_f32_f16 v54, v132, v125 :: v_dual_dot2acc_f32_f16 v107, v143, v135
	v_dual_dot2acc_f32_f16 v70, v133, v125 :: v_dual_dot2acc_f32_f16 v105, v143, v136
	v_dual_dot2acc_f32_f16 v76, v134, v123 :: v_dual_dot2acc_f32_f16 v93, v144, v136
	v_dual_dot2acc_f32_f16 v78, v134, v125 :: v_dual_dot2acc_f32_f16 v95, v144, v135
	ds_load_b128 v[127:130], v111 offset:19456
	ds_load_b128 v[119:122], v111 offset:19712
	ds_load_b128 v[123:126], v110 offset:3072
	ds_load_b128 v[131:134], v110 offset:3328
	v_dual_dot2acc_f32_f16 v106, v143, v137 :: v_dual_dot2acc_f32_f16 v89, v145, v138
	v_dual_dot2acc_f32_f16 v104, v143, v138 :: v_dual_dot2acc_f32_f16 v91, v145, v137
	v_dual_dot2acc_f32_f16 v94, v144, v137 :: v_dual_dot2acc_f32_f16 v65, v146, v138
	v_dual_dot2acc_f32_f16 v92, v144, v138 :: v_dual_dot2acc_f32_f16 v103, v143, v139
	v_dual_dot2acc_f32_f16 v90, v145, v135 :: v_dual_dot2acc_f32_f16 v101, v143, v141
	v_dual_dot2acc_f32_f16 v88, v145, v136 :: v_dual_dot2acc_f32_f16 v99, v144, v139
	v_dual_dot2acc_f32_f16 v66, v146, v135 :: v_dual_dot2acc_f32_f16 v97, v144, v140
	v_dual_dot2acc_f32_f16 v64, v146, v136 :: v_dual_dot2acc_f32_f16 v79, v145, v142
	s_waitcnt lgkmcnt(16)
	v_dual_dot2acc_f32_f16 v68, v146, v137 :: v_dual_dot2acc_f32_f16 v45, v147, v136
	;; [unrolled: 38-line block ×6, first 2 shown]
	v_dual_dot2acc_f32_f16 v102, v123, v120 :: v_dual_dot2acc_f32_f16 v75, v126, v119
	v_dual_dot2acc_f32_f16 v100, v123, v122 :: v_dual_dot2acc_f32_f16 v73, v126, v120
	v_dual_dot2acc_f32_f16 v98, v124, v121 :: v_dual_dot2acc_f32_f16 v47, v131, v130
	v_dual_dot2acc_f32_f16 v96, v124, v122 :: v_dual_dot2acc_f32_f16 v61, v133, v127
	v_dual_dot2acc_f32_f16 v84, v125, v119 :: v_dual_dot2acc_f32_f16 v57, v132, v128
	v_dual_dot2acc_f32_f16 v80, v125, v120 :: v_dual_dot2acc_f32_f16 v59, v132, v130
	v_dual_dot2acc_f32_f16 v82, v125, v121 :: v_dual_dot2acc_f32_f16 v85, v134, v127
	v_dual_dot2acc_f32_f16 v74, v126, v121 :: v_dual_dot2acc_f32_f16 v63, v133, v130
	v_dual_dot2acc_f32_f16 v72, v126, v122 :: v_dual_dot2acc_f32_f16 v49, v131, v120
	v_dual_dot2acc_f32_f16 v44, v131, v127 :: v_dual_dot2acc_f32_f16 v83, v134, v128
	v_dual_dot2acc_f32_f16 v46, v131, v129 :: v_dual_dot2acc_f32_f16 v87, v134, v130
	v_dual_dot2acc_f32_f16 v56, v132, v127 :: v_dual_dot2acc_f32_f16 v51, v131, v122
	v_dual_dot2acc_f32_f16 v58, v132, v129 :: v_dual_dot2acc_f32_f16 v69, v133, v119
	v_dual_dot2acc_f32_f16 v60, v133, v128 :: v_dual_dot2acc_f32_f16 v53, v132, v119
	v_dual_dot2acc_f32_f16 v62, v133, v129 :: v_dual_dot2acc_f32_f16 v55, v132, v122
	v_dual_dot2acc_f32_f16 v86, v134, v129 :: v_dual_dot2acc_f32_f16 v67, v133, v120
	v_dual_dot2acc_f32_f16 v48, v131, v119 :: v_dual_dot2acc_f32_f16 v71, v133, v122
	v_dual_dot2acc_f32_f16 v50, v131, v121 :: v_dual_dot2acc_f32_f16 v77, v134, v120
	v_dual_dot2acc_f32_f16 v52, v132, v120 :: v_dual_dot2acc_f32_f16 v81, v134, v122
	s_waitcnt lgkmcnt(13)
	v_dual_dot2acc_f32_f16 v54, v132, v121 :: v_dual_dot2acc_f32_f16 v107, v139, v143
	v_dual_dot2acc_f32_f16 v70, v133, v121 :: v_dual_dot2acc_f32_f16 v105, v139, v144
	v_dual_dot2acc_f32_f16 v76, v134, v119 :: v_dual_dot2acc_f32_f16 v93, v140, v144
	v_dual_dot2acc_f32_f16 v78, v134, v121 :: v_dual_dot2acc_f32_f16 v95, v140, v143
	v_dual_dot2acc_f32_f16 v106, v139, v145 :: v_dual_dot2acc_f32_f16 v89, v141, v146
	v_dual_dot2acc_f32_f16 v104, v139, v146 :: v_dual_dot2acc_f32_f16 v91, v141, v145
	v_dual_dot2acc_f32_f16 v94, v140, v145 :: v_dual_dot2acc_f32_f16 v65, v142, v146
	v_dual_dot2acc_f32_f16 v92, v140, v146 :: v_dual_dot2acc_f32_f16 v103, v139, v135
	v_dual_dot2acc_f32_f16 v90, v141, v143 :: v_dual_dot2acc_f32_f16 v101, v139, v137
	v_dual_dot2acc_f32_f16 v88, v141, v144 :: v_dual_dot2acc_f32_f16 v99, v140, v135
	v_dual_dot2acc_f32_f16 v66, v142, v143 :: v_dual_dot2acc_f32_f16 v97, v140, v136
	v_dual_dot2acc_f32_f16 v64, v142, v144 :: v_dual_dot2acc_f32_f16 v79, v141, v138
	s_waitcnt lgkmcnt(12)
	v_dual_dot2acc_f32_f16 v68, v142, v145 :: v_dual_dot2acc_f32_f16 v45, v147, v144
	v_dual_dot2acc_f32_f16 v102, v139, v136 :: v_dual_dot2acc_f32_f16 v75, v142, v135
	v_dual_dot2acc_f32_f16 v100, v139, v138 :: v_dual_dot2acc_f32_f16 v73, v142, v136
	v_dual_dot2acc_f32_f16 v98, v140, v137 :: v_dual_dot2acc_f32_f16 v47, v147, v146
	v_dual_dot2acc_f32_f16 v96, v140, v138 :: v_dual_dot2acc_f32_f16 v61, v149, v143
	v_dual_dot2acc_f32_f16 v84, v141, v135 :: v_dual_dot2acc_f32_f16 v57, v148, v144
	v_dual_dot2acc_f32_f16 v80, v141, v136 :: v_dual_dot2acc_f32_f16 v59, v148, v146
	v_dual_dot2acc_f32_f16 v82, v141, v137 :: v_dual_dot2acc_f32_f16 v85, v150, v143
	v_dual_dot2acc_f32_f16 v74, v142, v137 :: v_dual_dot2acc_f32_f16 v63, v149, v146
	v_dual_dot2acc_f32_f16 v72, v142, v138 :: v_dual_dot2acc_f32_f16 v49, v147, v136
	v_dual_dot2acc_f32_f16 v44, v147, v143 :: v_dual_dot2acc_f32_f16 v83, v150, v144
	v_dual_dot2acc_f32_f16 v46, v147, v145 :: v_dual_dot2acc_f32_f16 v87, v150, v146
	v_dual_dot2acc_f32_f16 v56, v148, v143 :: v_dual_dot2acc_f32_f16 v51, v147, v138
	v_dual_dot2acc_f32_f16 v58, v148, v145 :: v_dual_dot2acc_f32_f16 v69, v149, v135
	v_dual_dot2acc_f32_f16 v60, v149, v144 :: v_dual_dot2acc_f32_f16 v53, v148, v135
	v_dual_dot2acc_f32_f16 v62, v149, v145 :: v_dual_dot2acc_f32_f16 v55, v148, v138
	v_dual_dot2acc_f32_f16 v86, v150, v145 :: v_dual_dot2acc_f32_f16 v67, v149, v136
	v_dual_dot2acc_f32_f16 v48, v147, v135 :: v_dual_dot2acc_f32_f16 v71, v149, v138
	v_dual_dot2acc_f32_f16 v50, v147, v137 :: v_dual_dot2acc_f32_f16 v77, v150, v136
	v_dual_dot2acc_f32_f16 v52, v148, v136 :: v_dual_dot2acc_f32_f16 v81, v150, v138
	s_waitcnt lgkmcnt(9)
	v_dual_dot2acc_f32_f16 v54, v148, v137 :: v_dual_dot2acc_f32_f16 v107, v155, v159
	v_dual_dot2acc_f32_f16 v70, v149, v137 :: v_dual_dot2acc_f32_f16 v105, v155, v160
	v_dual_dot2acc_f32_f16 v76, v150, v135 :: v_dual_dot2acc_f32_f16 v93, v156, v160
	v_dual_dot2acc_f32_f16 v78, v150, v137 :: v_dual_dot2acc_f32_f16 v95, v156, v159
	v_dual_dot2acc_f32_f16 v106, v155, v161 :: v_dual_dot2acc_f32_f16 v89, v157, v162
	v_dual_dot2acc_f32_f16 v104, v155, v162 :: v_dual_dot2acc_f32_f16 v91, v157, v161
	v_dual_dot2acc_f32_f16 v94, v156, v161 :: v_dual_dot2acc_f32_f16 v65, v158, v162
	v_dual_dot2acc_f32_f16 v92, v156, v162 :: v_dual_dot2acc_f32_f16 v103, v155, v151
	v_dual_dot2acc_f32_f16 v90, v157, v159 :: v_dual_dot2acc_f32_f16 v101, v155, v153
	v_dual_dot2acc_f32_f16 v88, v157, v160 :: v_dual_dot2acc_f32_f16 v99, v156, v151
	v_dual_dot2acc_f32_f16 v66, v158, v159 :: v_dual_dot2acc_f32_f16 v97, v156, v152
	v_dual_dot2acc_f32_f16 v64, v158, v160 :: v_dual_dot2acc_f32_f16 v79, v157, v154
	s_waitcnt lgkmcnt(8)
	v_dual_dot2acc_f32_f16 v68, v158, v161 :: v_dual_dot2acc_f32_f16 v45, v163, v160
	;; [unrolled: 34-line block ×3, first 2 shown]
	v_dual_dot2acc_f32_f16 v102, v171, v168 :: v_dual_dot2acc_f32_f16 v75, v174, v167
	v_dual_dot2acc_f32_f16 v100, v171, v170 :: v_dual_dot2acc_f32_f16 v73, v174, v168
	;; [unrolled: 1-line block ×19, first 2 shown]
	s_waitcnt lgkmcnt(1)
	v_dual_dot2acc_f32_f16 v54, v180, v169 :: v_dual_dot2acc_f32_f16 v107, v31, v39
	v_dual_dot2acc_f32_f16 v70, v181, v169 :: v_dual_dot2acc_f32_f16 v105, v31, v40
	v_dual_dot2acc_f32_f16 v76, v182, v167 :: v_dual_dot2acc_f32_f16 v93, v32, v40
	v_dual_dot2acc_f32_f16 v78, v182, v169 :: v_dual_dot2acc_f32_f16 v95, v32, v39
	ds_load_b128 v[123:126], v111 offset:22016
	ds_load_b128 v[127:130], v111 offset:22272
	;; [unrolled: 1-line block ×16, first 2 shown]
	v_dual_dot2acc_f32_f16 v106, v31, v41 :: v_dual_dot2acc_f32_f16 v89, v33, v42
	v_dual_dot2acc_f32_f16 v104, v31, v42 :: v_dual_dot2acc_f32_f16 v91, v33, v41
	;; [unrolled: 1-line block ×8, first 2 shown]
	s_waitcnt lgkmcnt(16)
	v_dual_dot2acc_f32_f16 v68, v34, v41 :: v_dual_dot2acc_f32_f16 v45, v115, v40
	v_dual_dot2acc_f32_f16 v102, v31, v36 :: v_dual_dot2acc_f32_f16 v75, v34, v35
	;; [unrolled: 1-line block ×10, first 2 shown]
	ds_load_b128 v[31:34], v111 offset:24064
	v_dual_dot2acc_f32_f16 v44, v115, v39 :: v_dual_dot2acc_f32_f16 v83, v118, v40
	v_dual_dot2acc_f32_f16 v46, v115, v41 :: v_dual_dot2acc_f32_f16 v87, v118, v42
	;; [unrolled: 1-line block ×7, first 2 shown]
	ds_load_b128 v[39:42], v111 offset:24320
	s_clause 0x2
	buffer_load_b64 v[183:184], v29, s[0:3], 0 offen
	buffer_load_b64 v[185:186], v30, s[0:3], 0 offen
	;; [unrolled: 1-line block ×3, first 2 shown]
	v_dual_dot2acc_f32_f16 v48, v115, v35 :: v_dual_dot2acc_f32_f16 v71, v117, v38
	v_dual_dot2acc_f32_f16 v50, v115, v37 :: v_dual_dot2acc_f32_f16 v77, v118, v36
	;; [unrolled: 1-line block ×3, first 2 shown]
	s_waitcnt lgkmcnt(15)
	v_dual_dot2acc_f32_f16 v54, v116, v37 :: v_dual_dot2acc_f32_f16 v107, v119, v123
	v_dual_dot2acc_f32_f16 v70, v117, v37 :: v_dual_dot2acc_f32_f16 v105, v119, v124
	;; [unrolled: 1-line block ×4, first 2 shown]
	buffer_load_b64 v[37:38], v23, s[0:3], 0 offen
	s_clause 0x3
	buffer_load_b64 v[115:116], v24, s[8:11], 0 offen
	buffer_load_b64 v[117:118], v25, s[8:11], 0 offen
	;; [unrolled: 1-line block ×4, first 2 shown]
	v_dual_dot2acc_f32_f16 v106, v119, v125 :: v_dual_dot2acc_f32_f16 v89, v121, v126
	v_dual_dot2acc_f32_f16 v104, v119, v126 :: v_dual_dot2acc_f32_f16 v91, v121, v125
	;; [unrolled: 1-line block ×8, first 2 shown]
	s_waitcnt lgkmcnt(14)
	v_dual_dot2acc_f32_f16 v68, v122, v125 :: v_dual_dot2acc_f32_f16 v45, v131, v124
	v_dual_dot2acc_f32_f16 v102, v119, v128 :: v_dual_dot2acc_f32_f16 v75, v122, v127
	;; [unrolled: 1-line block ×10, first 2 shown]
	ds_load_b128 v[21:24], v110 offset:7680
	ds_load_b128 v[25:28], v110 offset:7936
	v_dual_dot2acc_f32_f16 v44, v131, v123 :: v_dual_dot2acc_f32_f16 v83, v134, v124
	v_dual_dot2acc_f32_f16 v56, v132, v123 :: v_dual_dot2acc_f32_f16 v51, v131, v130
	v_dual_dot2acc_f32_f16 v60, v133, v124 :: v_dual_dot2acc_f32_f16 v53, v132, v127
	v_dual_dot2acc_f32_f16 v46, v131, v125 :: v_dual_dot2acc_f32_f16 v87, v134, v126
	v_dual_dot2acc_f32_f16 v58, v132, v125 :: v_dual_dot2acc_f32_f16 v69, v133, v127
	v_dual_dot2acc_f32_f16 v62, v133, v125 :: v_dual_dot2acc_f32_f16 v55, v132, v130
	v_dual_dot2acc_f32_f16 v86, v134, v125 :: v_dual_dot2acc_f32_f16 v67, v133, v128
	v_dual_dot2acc_f32_f16 v48, v131, v127 :: v_dual_dot2acc_f32_f16 v71, v133, v130
	v_dual_dot2acc_f32_f16 v50, v131, v129 :: v_dual_dot2acc_f32_f16 v77, v134, v128
	v_dual_dot2acc_f32_f16 v52, v132, v128 :: v_dual_dot2acc_f32_f16 v81, v134, v130
	s_waitcnt lgkmcnt(13)
	v_dual_dot2acc_f32_f16 v54, v132, v129 :: v_dual_dot2acc_f32_f16 v107, v135, v139
	v_dual_dot2acc_f32_f16 v70, v133, v129 :: v_dual_dot2acc_f32_f16 v105, v135, v140
	v_dual_dot2acc_f32_f16 v76, v134, v127 :: v_dual_dot2acc_f32_f16 v93, v136, v140
	v_dual_dot2acc_f32_f16 v78, v134, v129 :: v_dual_dot2acc_f32_f16 v95, v136, v139
	v_dual_dot2acc_f32_f16 v106, v135, v141 :: v_dual_dot2acc_f32_f16 v89, v137, v142
	v_dual_dot2acc_f32_f16 v104, v135, v142 :: v_dual_dot2acc_f32_f16 v91, v137, v141
	v_dual_dot2acc_f32_f16 v94, v136, v141 :: v_dual_dot2acc_f32_f16 v65, v138, v142
	v_dual_dot2acc_f32_f16 v92, v136, v142 :: v_dual_dot2acc_f32_f16 v103, v135, v143
	v_dual_dot2acc_f32_f16 v90, v137, v139 :: v_dual_dot2acc_f32_f16 v101, v135, v145
	v_dual_dot2acc_f32_f16 v88, v137, v140 :: v_dual_dot2acc_f32_f16 v99, v136, v143
	v_dual_dot2acc_f32_f16 v66, v138, v139 :: v_dual_dot2acc_f32_f16 v97, v136, v144
	v_dual_dot2acc_f32_f16 v64, v138, v140 :: v_dual_dot2acc_f32_f16 v79, v137, v146
	s_waitcnt lgkmcnt(12)
	v_dual_dot2acc_f32_f16 v68, v138, v141 :: v_dual_dot2acc_f32_f16 v45, v147, v140
	v_dual_dot2acc_f32_f16 v102, v135, v144 :: v_dual_dot2acc_f32_f16 v75, v138, v143
	v_dual_dot2acc_f32_f16 v100, v135, v146 :: v_dual_dot2acc_f32_f16 v73, v138, v144
	v_dual_dot2acc_f32_f16 v98, v136, v145 :: v_dual_dot2acc_f32_f16 v47, v147, v142
	v_dual_dot2acc_f32_f16 v96, v136, v146 :: v_dual_dot2acc_f32_f16 v61, v149, v139
	v_dual_dot2acc_f32_f16 v84, v137, v143 :: v_dual_dot2acc_f32_f16 v57, v148, v140
	v_dual_dot2acc_f32_f16 v80, v137, v144 :: v_dual_dot2acc_f32_f16 v59, v148, v142
	v_dual_dot2acc_f32_f16 v82, v137, v145 :: v_dual_dot2acc_f32_f16 v85, v150, v139
	v_dual_dot2acc_f32_f16 v74, v138, v145 :: v_dual_dot2acc_f32_f16 v63, v149, v142
	v_dual_dot2acc_f32_f16 v72, v138, v146 :: v_dual_dot2acc_f32_f16 v49, v147, v144
	v_dual_dot2acc_f32_f16 v44, v147, v139 :: v_dual_dot2acc_f32_f16 v83, v150, v140
	v_dual_dot2acc_f32_f16 v56, v148, v139 :: v_dual_dot2acc_f32_f16 v51, v147, v146
	v_dual_dot2acc_f32_f16 v60, v149, v140 :: v_dual_dot2acc_f32_f16 v53, v148, v143
	v_dual_dot2acc_f32_f16 v46, v147, v141 :: v_dual_dot2acc_f32_f16 v87, v150, v142
	v_dual_dot2acc_f32_f16 v58, v148, v141 :: v_dual_dot2acc_f32_f16 v69, v149, v143
	v_dual_dot2acc_f32_f16 v62, v149, v141 :: v_dual_dot2acc_f32_f16 v55, v148, v146
	v_dual_dot2acc_f32_f16 v86, v150, v141 :: v_dual_dot2acc_f32_f16 v67, v149, v144
	v_dual_dot2acc_f32_f16 v48, v147, v143 :: v_dual_dot2acc_f32_f16 v71, v149, v146
	v_dual_dot2acc_f32_f16 v50, v147, v145 :: v_dual_dot2acc_f32_f16 v77, v150, v144
	v_dual_dot2acc_f32_f16 v52, v148, v144 :: v_dual_dot2acc_f32_f16 v81, v150, v146
	s_waitcnt lgkmcnt(9)
	v_dual_dot2acc_f32_f16 v54, v148, v145 :: v_dual_dot2acc_f32_f16 v107, v151, v155
	v_dual_dot2acc_f32_f16 v70, v149, v145 :: v_dual_dot2acc_f32_f16 v105, v151, v156
	v_dual_dot2acc_f32_f16 v76, v150, v143 :: v_dual_dot2acc_f32_f16 v93, v152, v156
	v_dual_dot2acc_f32_f16 v78, v150, v145 :: v_dual_dot2acc_f32_f16 v95, v152, v155
	v_dual_dot2acc_f32_f16 v106, v151, v157 :: v_dual_dot2acc_f32_f16 v89, v153, v158
	v_dual_dot2acc_f32_f16 v104, v151, v158 :: v_dual_dot2acc_f32_f16 v91, v153, v157
	v_dual_dot2acc_f32_f16 v94, v152, v157 :: v_dual_dot2acc_f32_f16 v65, v154, v158
	v_dual_dot2acc_f32_f16 v92, v152, v158 :: v_dual_dot2acc_f32_f16 v103, v151, v159
	v_dual_dot2acc_f32_f16 v90, v153, v155 :: v_dual_dot2acc_f32_f16 v101, v151, v161
	v_dual_dot2acc_f32_f16 v88, v153, v156 :: v_dual_dot2acc_f32_f16 v99, v152, v159
	v_dual_dot2acc_f32_f16 v66, v154, v155 :: v_dual_dot2acc_f32_f16 v97, v152, v160
	v_dual_dot2acc_f32_f16 v64, v154, v156 :: v_dual_dot2acc_f32_f16 v79, v153, v162
	s_waitcnt lgkmcnt(8)
	v_dual_dot2acc_f32_f16 v68, v154, v157 :: v_dual_dot2acc_f32_f16 v45, v163, v156
	v_dual_dot2acc_f32_f16 v102, v151, v160 :: v_dual_dot2acc_f32_f16 v75, v154, v159
	v_dual_dot2acc_f32_f16 v100, v151, v162 :: v_dual_dot2acc_f32_f16 v73, v154, v160
	v_dual_dot2acc_f32_f16 v98, v152, v161 :: v_dual_dot2acc_f32_f16 v47, v163, v158
	v_dual_dot2acc_f32_f16 v96, v152, v162 :: v_dual_dot2acc_f32_f16 v61, v165, v155
	v_dual_dot2acc_f32_f16 v84, v153, v159 :: v_dual_dot2acc_f32_f16 v57, v164, v156
	v_dual_dot2acc_f32_f16 v80, v153, v160 :: v_dual_dot2acc_f32_f16 v59, v164, v158
	v_dual_dot2acc_f32_f16 v82, v153, v161 :: v_dual_dot2acc_f32_f16 v85, v166, v155
	v_dual_dot2acc_f32_f16 v74, v154, v161 :: v_dual_dot2acc_f32_f16 v63, v165, v158
	v_dual_dot2acc_f32_f16 v72, v154, v162 :: v_dual_dot2acc_f32_f16 v49, v163, v160
	;; [unrolled: 34-line block ×4, first 2 shown]
	v_perm_b32 v22, v14, v12, 0x7060302
	v_perm_b32 v21, v14, v12, 0x5040100
	;; [unrolled: 1-line block ×4, first 2 shown]
	v_dual_dot2acc_f32_f16 v44, v25, v31 :: v_dual_dot2acc_f32_f16 v83, v28, v32
	v_dual_dot2acc_f32_f16 v56, v26, v31 :: v_dual_dot2acc_f32_f16 v51, v25, v42
	;; [unrolled: 1-line block ×3, first 2 shown]
	v_perm_b32 v30, v6, v4, 0x7060302
	v_perm_b32 v29, v6, v4, 0x5040100
	v_perm_b32 v31, v7, v5, 0x5040100
	v_perm_b32 v32, v7, v5, 0x7060302
	v_dual_dot2acc_f32_f16 v46, v25, v33 :: v_dual_dot2acc_f32_f16 v87, v28, v34
	v_dual_dot2acc_f32_f16 v58, v26, v33 :: v_dual_dot2acc_f32_f16 v69, v27, v39
	;; [unrolled: 1-line block ×7, first 2 shown]
	v_dot2acc_f32_f16 v54, v26, v41
	v_dot2acc_f32_f16 v70, v27, v41
	;; [unrolled: 1-line block ×4, first 2 shown]
	v_perm_b32 v26, v8, v10, 0x7060302
	v_perm_b32 v25, v8, v10, 0x5040100
	;; [unrolled: 1-line block ×8, first 2 shown]
	s_waitcnt vmcnt(4)
	v_perm_b32 v5, v187, v37, 0x7060302
	v_perm_b32 v4, v187, v37, 0x5040100
	;; [unrolled: 1-line block ×4, first 2 shown]
	s_waitcnt vmcnt(2)
	v_perm_b32 v9, v117, v115, 0x7060302
	v_perm_b32 v8, v117, v115, 0x5040100
	v_perm_b32 v10, v118, v116, 0x5040100
	v_perm_b32 v11, v118, v116, 0x7060302
	ds_store_b128 v112, v[21:24] offset:8192
	ds_store_b128 v112, v[29:32] offset:24576
	;; [unrolled: 1-line block ×4, first 2 shown]
	s_waitcnt vmcnt(0) lgkmcnt(0)
	s_barrier
	ds_load_b128 v[21:24], v111 offset:24576
	ds_load_b128 v[25:28], v111 offset:24832
	ds_load_b128 v[29:32], v110 offset:8192
	ds_load_b128 v[33:36], v110 offset:8448
	ds_load_b128 v[37:40], v111 offset:25088
	ds_load_b128 v[115:118], v111 offset:25344
	ds_load_b128 v[119:122], v110 offset:8704
	ds_load_b128 v[123:126], v110 offset:8960
	ds_load_b128 v[127:130], v111 offset:25600
	ds_load_b128 v[131:134], v111 offset:25856
	ds_load_b128 v[135:138], v110 offset:9216
	ds_load_b128 v[139:142], v110 offset:9472
	ds_load_b128 v[143:146], v111 offset:26112
	ds_load_b128 v[147:150], v111 offset:26368
	ds_load_b128 v[151:154], v110 offset:9728
	ds_load_b128 v[155:158], v110 offset:9984
	ds_load_b128 v[159:162], v111 offset:26624
	ds_load_b128 v[163:166], v111 offset:26880
	ds_load_b128 v[167:170], v110 offset:10240
	ds_load_b128 v[171:174], v110 offset:10496
	ds_load_b128 v[175:178], v111 offset:27136
	ds_load_b128 v[179:182], v111 offset:27392
	s_waitcnt lgkmcnt(19)
	v_dot2acc_f32_f16 v91, v31, v23
	v_dot2acc_f32_f16 v107, v29, v21
	;; [unrolled: 1-line block ×3, first 2 shown]
	v_dual_dot2acc_f32_f16 v106, v29, v23 :: v_dual_dot2acc_f32_f16 v95, v30, v21
	v_dual_dot2acc_f32_f16 v104, v29, v24 :: v_dual_dot2acc_f32_f16 v99, v30, v25
	v_dot2acc_f32_f16 v93, v30, v22
	v_dual_dot2acc_f32_f16 v94, v30, v23 :: v_dual_dot2acc_f32_f16 v89, v31, v24
	v_dual_dot2acc_f32_f16 v92, v30, v24 :: v_dual_dot2acc_f32_f16 v103, v29, v25
	;; [unrolled: 1-line block ×6, first 2 shown]
	s_waitcnt lgkmcnt(18)
	v_dual_dot2acc_f32_f16 v68, v32, v23 :: v_dual_dot2acc_f32_f16 v45, v33, v22
	v_dual_dot2acc_f32_f16 v102, v29, v26 :: v_dual_dot2acc_f32_f16 v75, v32, v25
	v_dual_dot2acc_f32_f16 v100, v29, v28 :: v_dual_dot2acc_f32_f16 v73, v32, v26
	v_dual_dot2acc_f32_f16 v98, v30, v27 :: v_dual_dot2acc_f32_f16 v47, v33, v24
	v_dual_dot2acc_f32_f16 v96, v30, v28 :: v_dual_dot2acc_f32_f16 v61, v35, v21
	v_dual_dot2acc_f32_f16 v84, v31, v25 :: v_dual_dot2acc_f32_f16 v57, v34, v22
	v_dual_dot2acc_f32_f16 v80, v31, v26 :: v_dual_dot2acc_f32_f16 v59, v34, v24
	v_dual_dot2acc_f32_f16 v82, v31, v27 :: v_dual_dot2acc_f32_f16 v85, v36, v21
	v_dual_dot2acc_f32_f16 v74, v32, v27 :: v_dual_dot2acc_f32_f16 v63, v35, v24
	v_dual_dot2acc_f32_f16 v72, v32, v28 :: v_dual_dot2acc_f32_f16 v49, v33, v26
	v_dual_dot2acc_f32_f16 v44, v33, v21 :: v_dual_dot2acc_f32_f16 v83, v36, v22
	v_dual_dot2acc_f32_f16 v46, v33, v23 :: v_dual_dot2acc_f32_f16 v87, v36, v24
	v_dual_dot2acc_f32_f16 v56, v34, v21 :: v_dual_dot2acc_f32_f16 v51, v33, v28
	v_dual_dot2acc_f32_f16 v58, v34, v23 :: v_dual_dot2acc_f32_f16 v69, v35, v25
	v_dual_dot2acc_f32_f16 v60, v35, v22 :: v_dual_dot2acc_f32_f16 v53, v34, v25
	v_dual_dot2acc_f32_f16 v62, v35, v23 :: v_dual_dot2acc_f32_f16 v55, v34, v28
	v_dual_dot2acc_f32_f16 v86, v36, v23 :: v_dual_dot2acc_f32_f16 v67, v35, v26
	v_dual_dot2acc_f32_f16 v48, v33, v25 :: v_dual_dot2acc_f32_f16 v71, v35, v28
	v_dual_dot2acc_f32_f16 v50, v33, v27 :: v_dual_dot2acc_f32_f16 v77, v36, v26
	v_dual_dot2acc_f32_f16 v52, v34, v26 :: v_dual_dot2acc_f32_f16 v81, v36, v28
	s_waitcnt lgkmcnt(15)
	v_dual_dot2acc_f32_f16 v54, v34, v27 :: v_dual_dot2acc_f32_f16 v107, v119, v37
	v_dual_dot2acc_f32_f16 v70, v35, v27 :: v_dual_dot2acc_f32_f16 v95, v120, v37
	;; [unrolled: 1-line block ×4, first 2 shown]
	ds_load_b128 v[29:32], v110 offset:10752
	ds_load_b128 v[21:24], v110 offset:11008
	v_dual_dot2acc_f32_f16 v106, v119, v39 :: v_dual_dot2acc_f32_f16 v93, v120, v38
	v_dual_dot2acc_f32_f16 v104, v119, v40 :: v_dual_dot2acc_f32_f16 v91, v121, v39
	;; [unrolled: 1-line block ×7, first 2 shown]
	s_waitcnt lgkmcnt(16)
	v_dual_dot2acc_f32_f16 v64, v122, v38 :: v_dual_dot2acc_f32_f16 v47, v123, v40
	v_dual_dot2acc_f32_f16 v68, v122, v39 :: v_dual_dot2acc_f32_f16 v79, v121, v118
	;; [unrolled: 1-line block ×21, first 2 shown]
	s_waitcnt lgkmcnt(13)
	v_dual_dot2acc_f32_f16 v54, v124, v117 :: v_dual_dot2acc_f32_f16 v107, v135, v127
	v_dual_dot2acc_f32_f16 v70, v125, v117 :: v_dual_dot2acc_f32_f16 v105, v135, v128
	v_dual_dot2acc_f32_f16 v76, v126, v115 :: v_dual_dot2acc_f32_f16 v93, v136, v128
	v_dual_dot2acc_f32_f16 v78, v126, v117 :: v_dual_dot2acc_f32_f16 v95, v136, v127
	ds_load_b128 v[25:28], v111 offset:27648
	ds_load_b128 v[33:36], v111 offset:27904
	ds_load_b128 v[119:122], v110 offset:11264
	ds_load_b128 v[37:40], v110 offset:11520
	v_dual_dot2acc_f32_f16 v106, v135, v129 :: v_dual_dot2acc_f32_f16 v89, v137, v130
	v_dual_dot2acc_f32_f16 v104, v135, v130 :: v_dual_dot2acc_f32_f16 v91, v137, v129
	v_dual_dot2acc_f32_f16 v94, v136, v129 :: v_dual_dot2acc_f32_f16 v65, v138, v130
	v_dual_dot2acc_f32_f16 v92, v136, v130 :: v_dual_dot2acc_f32_f16 v103, v135, v131
	v_dual_dot2acc_f32_f16 v90, v137, v127 :: v_dual_dot2acc_f32_f16 v101, v135, v133
	v_dual_dot2acc_f32_f16 v88, v137, v128 :: v_dual_dot2acc_f32_f16 v99, v136, v131
	v_dual_dot2acc_f32_f16 v66, v138, v127 :: v_dual_dot2acc_f32_f16 v97, v136, v132
	v_dual_dot2acc_f32_f16 v64, v138, v128 :: v_dual_dot2acc_f32_f16 v79, v137, v134
	s_waitcnt lgkmcnt(16)
	v_dual_dot2acc_f32_f16 v68, v138, v129 :: v_dual_dot2acc_f32_f16 v45, v139, v128
	v_dual_dot2acc_f32_f16 v102, v135, v132 :: v_dual_dot2acc_f32_f16 v75, v138, v131
	v_dual_dot2acc_f32_f16 v100, v135, v134 :: v_dual_dot2acc_f32_f16 v73, v138, v132
	v_dual_dot2acc_f32_f16 v98, v136, v133 :: v_dual_dot2acc_f32_f16 v47, v139, v130
	v_dual_dot2acc_f32_f16 v96, v136, v134 :: v_dual_dot2acc_f32_f16 v61, v141, v127
	v_dual_dot2acc_f32_f16 v84, v137, v131 :: v_dual_dot2acc_f32_f16 v57, v140, v128
	v_dual_dot2acc_f32_f16 v80, v137, v132 :: v_dual_dot2acc_f32_f16 v59, v140, v130
	v_dual_dot2acc_f32_f16 v82, v137, v133 :: v_dual_dot2acc_f32_f16 v85, v142, v127
	v_dual_dot2acc_f32_f16 v74, v138, v133 :: v_dual_dot2acc_f32_f16 v63, v141, v130
	v_dual_dot2acc_f32_f16 v72, v138, v134 :: v_dual_dot2acc_f32_f16 v49, v139, v132
	v_dual_dot2acc_f32_f16 v44, v139, v127 :: v_dual_dot2acc_f32_f16 v83, v142, v128
	v_dual_dot2acc_f32_f16 v46, v139, v129 :: v_dual_dot2acc_f32_f16 v87, v142, v130
	v_dual_dot2acc_f32_f16 v56, v140, v127 :: v_dual_dot2acc_f32_f16 v51, v139, v134
	v_dual_dot2acc_f32_f16 v58, v140, v129 :: v_dual_dot2acc_f32_f16 v69, v141, v131
	v_dual_dot2acc_f32_f16 v60, v141, v128 :: v_dual_dot2acc_f32_f16 v53, v140, v131
	v_dual_dot2acc_f32_f16 v62, v141, v129 :: v_dual_dot2acc_f32_f16 v55, v140, v134
	v_dual_dot2acc_f32_f16 v86, v142, v129 :: v_dual_dot2acc_f32_f16 v67, v141, v132
	v_dual_dot2acc_f32_f16 v48, v139, v131 :: v_dual_dot2acc_f32_f16 v71, v141, v134
	v_dual_dot2acc_f32_f16 v50, v139, v133 :: v_dual_dot2acc_f32_f16 v77, v142, v132
	v_dual_dot2acc_f32_f16 v52, v140, v132 :: v_dual_dot2acc_f32_f16 v81, v142, v134
	s_waitcnt lgkmcnt(13)
	v_dual_dot2acc_f32_f16 v54, v140, v133 :: v_dual_dot2acc_f32_f16 v107, v151, v143
	v_dual_dot2acc_f32_f16 v70, v141, v133 :: v_dual_dot2acc_f32_f16 v105, v151, v144
	v_dual_dot2acc_f32_f16 v76, v142, v131 :: v_dual_dot2acc_f32_f16 v93, v152, v144
	v_dual_dot2acc_f32_f16 v78, v142, v133 :: v_dual_dot2acc_f32_f16 v95, v152, v143
	ds_load_b128 v[115:118], v111 offset:28160
	ds_load_b128 v[123:126], v111 offset:28416
	ds_load_b128 v[135:138], v110 offset:11776
	ds_load_b128 v[127:130], v110 offset:12032
	v_dual_dot2acc_f32_f16 v106, v151, v145 :: v_dual_dot2acc_f32_f16 v89, v153, v146
	v_dual_dot2acc_f32_f16 v104, v151, v146 :: v_dual_dot2acc_f32_f16 v91, v153, v145
	v_dual_dot2acc_f32_f16 v94, v152, v145 :: v_dual_dot2acc_f32_f16 v65, v154, v146
	v_dual_dot2acc_f32_f16 v92, v152, v146 :: v_dual_dot2acc_f32_f16 v103, v151, v147
	v_dual_dot2acc_f32_f16 v90, v153, v143 :: v_dual_dot2acc_f32_f16 v101, v151, v149
	v_dual_dot2acc_f32_f16 v88, v153, v144 :: v_dual_dot2acc_f32_f16 v99, v152, v147
	v_dual_dot2acc_f32_f16 v66, v154, v143 :: v_dual_dot2acc_f32_f16 v97, v152, v148
	v_dual_dot2acc_f32_f16 v64, v154, v144 :: v_dual_dot2acc_f32_f16 v79, v153, v150
	s_waitcnt lgkmcnt(16)
	v_dual_dot2acc_f32_f16 v68, v154, v145 :: v_dual_dot2acc_f32_f16 v45, v155, v144
	v_dual_dot2acc_f32_f16 v102, v151, v148 :: v_dual_dot2acc_f32_f16 v75, v154, v147
	v_dual_dot2acc_f32_f16 v100, v151, v150 :: v_dual_dot2acc_f32_f16 v73, v154, v148
	v_dual_dot2acc_f32_f16 v98, v152, v149 :: v_dual_dot2acc_f32_f16 v47, v155, v146
	v_dual_dot2acc_f32_f16 v96, v152, v150 :: v_dual_dot2acc_f32_f16 v61, v157, v143
	v_dual_dot2acc_f32_f16 v84, v153, v147 :: v_dual_dot2acc_f32_f16 v57, v156, v144
	v_dual_dot2acc_f32_f16 v80, v153, v148 :: v_dual_dot2acc_f32_f16 v59, v156, v146
	v_dual_dot2acc_f32_f16 v82, v153, v149 :: v_dual_dot2acc_f32_f16 v85, v158, v143
	v_dual_dot2acc_f32_f16 v74, v154, v149 :: v_dual_dot2acc_f32_f16 v63, v157, v146
	v_dual_dot2acc_f32_f16 v72, v154, v150 :: v_dual_dot2acc_f32_f16 v49, v155, v148
	v_dual_dot2acc_f32_f16 v44, v155, v143 :: v_dual_dot2acc_f32_f16 v83, v158, v144
	v_dual_dot2acc_f32_f16 v46, v155, v145 :: v_dual_dot2acc_f32_f16 v87, v158, v146
	v_dual_dot2acc_f32_f16 v56, v156, v143 :: v_dual_dot2acc_f32_f16 v51, v155, v150
	v_dual_dot2acc_f32_f16 v58, v156, v145 :: v_dual_dot2acc_f32_f16 v69, v157, v147
	v_dual_dot2acc_f32_f16 v60, v157, v144 :: v_dual_dot2acc_f32_f16 v53, v156, v147
	v_dual_dot2acc_f32_f16 v62, v157, v145 :: v_dual_dot2acc_f32_f16 v55, v156, v150
	v_dual_dot2acc_f32_f16 v86, v158, v145 :: v_dual_dot2acc_f32_f16 v67, v157, v148
	v_dual_dot2acc_f32_f16 v48, v155, v147 :: v_dual_dot2acc_f32_f16 v71, v157, v150
	v_dual_dot2acc_f32_f16 v50, v155, v149 :: v_dual_dot2acc_f32_f16 v77, v158, v148
	v_dual_dot2acc_f32_f16 v52, v156, v148 :: v_dual_dot2acc_f32_f16 v81, v158, v150
	;; [unrolled: 38-line block ×9, first 2 shown]
	s_waitcnt lgkmcnt(13)
	v_dual_dot2acc_f32_f16 v54, v176, v173 :: v_dual_dot2acc_f32_f16 v105, v119, v22
	v_dual_dot2acc_f32_f16 v70, v177, v173 :: v_dual_dot2acc_f32_f16 v93, v120, v22
	;; [unrolled: 1-line block ×4, first 2 shown]
	ds_load_b128 v[155:158], v111 offset:32256
	ds_load_b128 v[159:162], v111 offset:32512
	ds_load_b128 v[29:32], v110 offset:15872
	ds_load_b128 v[163:166], v110 offset:16128
	v_dual_dot2acc_f32_f16 v106, v119, v23 :: v_dual_dot2acc_f32_f16 v95, v120, v21
	v_dual_dot2acc_f32_f16 v104, v119, v24 :: v_dual_dot2acc_f32_f16 v99, v120, v179
	;; [unrolled: 1-line block ×7, first 2 shown]
	s_waitcnt lgkmcnt(16)
	v_dual_dot2acc_f32_f16 v64, v122, v22 :: v_dual_dot2acc_f32_f16 v47, v25, v24
	v_dual_dot2acc_f32_f16 v68, v122, v23 :: v_dual_dot2acc_f32_f16 v79, v121, v182
	;; [unrolled: 1-line block ×21, first 2 shown]
	s_waitcnt lgkmcnt(13)
	v_dual_dot2acc_f32_f16 v54, v26, v181 :: v_dual_dot2acc_f32_f16 v105, v135, v34
	v_dual_dot2acc_f32_f16 v70, v27, v181 :: v_dual_dot2acc_f32_f16 v93, v136, v34
	v_dual_dot2acc_f32_f16 v76, v28, v179 :: v_dual_dot2acc_f32_f16 v107, v135, v33
	v_dual_dot2acc_f32_f16 v78, v28, v181 :: v_dual_dot2acc_f32_f16 v91, v137, v35
	v_dual_dot2acc_f32_f16 v106, v135, v35 :: v_dual_dot2acc_f32_f16 v95, v136, v33
	v_dual_dot2acc_f32_f16 v104, v135, v36 :: v_dual_dot2acc_f32_f16 v99, v136, v37
	v_dual_dot2acc_f32_f16 v94, v136, v35 :: v_dual_dot2acc_f32_f16 v89, v137, v36
	v_dual_dot2acc_f32_f16 v92, v136, v36 :: v_dual_dot2acc_f32_f16 v103, v135, v37
	v_dual_dot2acc_f32_f16 v90, v137, v33 :: v_dual_dot2acc_f32_f16 v65, v138, v36
	v_dual_dot2acc_f32_f16 v88, v137, v34 :: v_dual_dot2acc_f32_f16 v101, v135, v39
	v_dual_dot2acc_f32_f16 v66, v138, v33 :: v_dual_dot2acc_f32_f16 v97, v136, v38
	v_dual_dot2acc_f32_f16 v64, v138, v34 :: v_dual_dot2acc_f32_f16 v79, v137, v40
	s_waitcnt lgkmcnt(12)
	v_dual_dot2acc_f32_f16 v68, v138, v35 :: v_dual_dot2acc_f32_f16 v45, v115, v34
	v_dual_dot2acc_f32_f16 v102, v135, v38 :: v_dual_dot2acc_f32_f16 v75, v138, v37
	v_dual_dot2acc_f32_f16 v100, v135, v40 :: v_dual_dot2acc_f32_f16 v73, v138, v38
	v_dual_dot2acc_f32_f16 v98, v136, v39 :: v_dual_dot2acc_f32_f16 v47, v115, v36
	v_dual_dot2acc_f32_f16 v96, v136, v40 :: v_dual_dot2acc_f32_f16 v61, v117, v33
	v_dual_dot2acc_f32_f16 v84, v137, v37 :: v_dual_dot2acc_f32_f16 v57, v116, v34
	v_dual_dot2acc_f32_f16 v80, v137, v38 :: v_dual_dot2acc_f32_f16 v59, v116, v36
	v_dual_dot2acc_f32_f16 v82, v137, v39 :: v_dual_dot2acc_f32_f16 v85, v118, v33
	v_dual_dot2acc_f32_f16 v74, v138, v39 :: v_dual_dot2acc_f32_f16 v63, v117, v36
	v_dual_dot2acc_f32_f16 v72, v138, v40 :: v_dual_dot2acc_f32_f16 v49, v115, v38
	v_dual_dot2acc_f32_f16 v44, v115, v33 :: v_dual_dot2acc_f32_f16 v83, v118, v34
	v_dual_dot2acc_f32_f16 v46, v115, v35 :: v_dual_dot2acc_f32_f16 v87, v118, v36
	v_dual_dot2acc_f32_f16 v56, v116, v33 :: v_dual_dot2acc_f32_f16 v51, v115, v40
	v_dual_dot2acc_f32_f16 v58, v116, v35 :: v_dual_dot2acc_f32_f16 v69, v117, v37
	v_dual_dot2acc_f32_f16 v60, v117, v34 :: v_dual_dot2acc_f32_f16 v53, v116, v37
	v_dual_dot2acc_f32_f16 v62, v117, v35 :: v_dual_dot2acc_f32_f16 v55, v116, v40
	v_dual_dot2acc_f32_f16 v86, v118, v35 :: v_dual_dot2acc_f32_f16 v67, v117, v38
	v_dual_dot2acc_f32_f16 v48, v115, v37 :: v_dual_dot2acc_f32_f16 v71, v117, v40
	v_dual_dot2acc_f32_f16 v50, v115, v39 :: v_dual_dot2acc_f32_f16 v77, v118, v38
	v_dual_dot2acc_f32_f16 v52, v116, v38 :: v_dual_dot2acc_f32_f16 v81, v118, v40
	s_waitcnt lgkmcnt(9)
	v_dual_dot2acc_f32_f16 v54, v116, v39 :: v_dual_dot2acc_f32_f16 v105, v151, v124
	v_dual_dot2acc_f32_f16 v70, v117, v39 :: v_dual_dot2acc_f32_f16 v93, v152, v124
	v_dual_dot2acc_f32_f16 v76, v118, v37 :: v_dual_dot2acc_f32_f16 v107, v151, v123
	v_dual_dot2acc_f32_f16 v78, v118, v39 :: v_dual_dot2acc_f32_f16 v91, v153, v125
	v_dual_dot2acc_f32_f16 v106, v151, v125 :: v_dual_dot2acc_f32_f16 v95, v152, v123
	v_dual_dot2acc_f32_f16 v104, v151, v126 :: v_dual_dot2acc_f32_f16 v99, v152, v127
	v_dual_dot2acc_f32_f16 v94, v152, v125 :: v_dual_dot2acc_f32_f16 v89, v153, v126
	v_dual_dot2acc_f32_f16 v92, v152, v126 :: v_dual_dot2acc_f32_f16 v103, v151, v127
	v_dual_dot2acc_f32_f16 v90, v153, v123 :: v_dual_dot2acc_f32_f16 v65, v154, v126
	v_dual_dot2acc_f32_f16 v88, v153, v124 :: v_dual_dot2acc_f32_f16 v101, v151, v129
	v_dual_dot2acc_f32_f16 v66, v154, v123 :: v_dual_dot2acc_f32_f16 v97, v152, v128
	v_dual_dot2acc_f32_f16 v64, v154, v124 :: v_dual_dot2acc_f32_f16 v79, v153, v130
	s_waitcnt lgkmcnt(8)
	v_dual_dot2acc_f32_f16 v68, v154, v125 :: v_dual_dot2acc_f32_f16 v45, v131, v124
	v_dual_dot2acc_f32_f16 v102, v151, v128 :: v_dual_dot2acc_f32_f16 v75, v154, v127
	v_dual_dot2acc_f32_f16 v100, v151, v130 :: v_dual_dot2acc_f32_f16 v73, v154, v128
	v_dual_dot2acc_f32_f16 v98, v152, v129 :: v_dual_dot2acc_f32_f16 v47, v131, v126
	v_dual_dot2acc_f32_f16 v96, v152, v130 :: v_dual_dot2acc_f32_f16 v61, v133, v123
	v_dual_dot2acc_f32_f16 v84, v153, v127 :: v_dual_dot2acc_f32_f16 v57, v132, v124
	v_dual_dot2acc_f32_f16 v80, v153, v128 :: v_dual_dot2acc_f32_f16 v59, v132, v126
	v_dual_dot2acc_f32_f16 v82, v153, v129 :: v_dual_dot2acc_f32_f16 v85, v134, v123
	v_dual_dot2acc_f32_f16 v74, v154, v129 :: v_dual_dot2acc_f32_f16 v63, v133, v126
	v_dual_dot2acc_f32_f16 v72, v154, v130 :: v_dual_dot2acc_f32_f16 v49, v131, v128
	v_dual_dot2acc_f32_f16 v44, v131, v123 :: v_dual_dot2acc_f32_f16 v83, v134, v124
	v_dual_dot2acc_f32_f16 v46, v131, v125 :: v_dual_dot2acc_f32_f16 v87, v134, v126
	v_dual_dot2acc_f32_f16 v56, v132, v123 :: v_dual_dot2acc_f32_f16 v51, v131, v130
	v_dual_dot2acc_f32_f16 v58, v132, v125 :: v_dual_dot2acc_f32_f16 v69, v133, v127
	v_dual_dot2acc_f32_f16 v60, v133, v124 :: v_dual_dot2acc_f32_f16 v53, v132, v127
	v_dual_dot2acc_f32_f16 v62, v133, v125 :: v_dual_dot2acc_f32_f16 v55, v132, v130
	v_dual_dot2acc_f32_f16 v86, v134, v125 :: v_dual_dot2acc_f32_f16 v67, v133, v128
	v_dual_dot2acc_f32_f16 v48, v131, v127 :: v_dual_dot2acc_f32_f16 v71, v133, v130
	v_dual_dot2acc_f32_f16 v50, v131, v129 :: v_dual_dot2acc_f32_f16 v77, v134, v128
	v_dual_dot2acc_f32_f16 v52, v132, v128 :: v_dual_dot2acc_f32_f16 v81, v134, v130
	;; [unrolled: 34-line block ×3, first 2 shown]
	s_waitcnt lgkmcnt(1)
	v_dual_dot2acc_f32_f16 v54, v148, v145 :: v_dual_dot2acc_f32_f16 v107, v29, v155
	v_dual_dot2acc_f32_f16 v70, v149, v145 :: v_dual_dot2acc_f32_f16 v95, v30, v155
	;; [unrolled: 1-line block ×4, first 2 shown]
	v_perm_b32 v1, v185, v183, 0x7060302
	v_perm_b32 v0, v185, v183, 0x5040100
	;; [unrolled: 1-line block ×4, first 2 shown]
	v_dual_dot2acc_f32_f16 v106, v29, v157 :: v_dual_dot2acc_f32_f16 v93, v30, v156
	v_dual_dot2acc_f32_f16 v104, v29, v158 :: v_dual_dot2acc_f32_f16 v91, v31, v157
	;; [unrolled: 1-line block ×8, first 2 shown]
	s_waitcnt lgkmcnt(0)
	v_dual_dot2acc_f32_f16 v68, v32, v157 :: v_dual_dot2acc_f32_f16 v45, v163, v156
	v_dual_dot2acc_f32_f16 v102, v29, v160 :: v_dual_dot2acc_f32_f16 v75, v32, v159
	;; [unrolled: 1-line block ×20, first 2 shown]
	v_dot2acc_f32_f16 v54, v164, v161
	v_dot2acc_f32_f16 v70, v165, v161
	;; [unrolled: 1-line block ×4, first 2 shown]
	s_add_i32 s17, s17, 32
	s_add_i32 s23, s23, s20
	;; [unrolled: 1-line block ×17, first 2 shown]
	s_cmp_lt_i32 s17, s18
	v_perm_b32 v13, v189, v191, 0x7060302
	v_perm_b32 v12, v189, v191, 0x5040100
	;; [unrolled: 1-line block ×4, first 2 shown]
	ds_store_b128 v112, v[0:3]
	ds_store_b128 v112, v[4:7] offset:512
	ds_store_b128 v112, v[8:11] offset:16384
	ds_store_b128 v17, v[12:15] offset:512
	s_cbranch_scc1 .LBB1_1
; %bb.2:
	s_mul_i32 s18, s14, 3
	s_mul_i32 s19, s14, 30
	s_waitcnt lgkmcnt(0)
	v_add3_u32 v0, s19, s18, v18
	s_add_i32 s19, s19, s15
	s_barrier
	v_add_lshl_u32 v1, s19, v18, 1
	s_mul_i32 s17, s28, 3
	v_lshlrev_b32_e32 v2, 1, v0
	s_mul_i32 s20, s28, 30
	v_add_nc_u32_e32 v0, s15, v0
	s_clause 0x1
	buffer_load_b64 v[28:29], v1, s[0:3], 0 offen
	buffer_load_b64 v[30:31], v2, s[0:3], 0 offen
	v_add3_u32 v3, s20, s17, v16
	s_add_i32 s18, s20, s16
	v_subrev_nc_u32_e32 v2, s14, v0
	v_add_lshl_u32 v4, s18, v16, 1
	v_lshlrev_b32_e32 v0, 1, v0
	v_add_nc_u32_e32 v1, s16, v3
	v_lshlrev_b32_e32 v3, 1, v3
	v_lshlrev_b32_e32 v2, 1, v2
	s_clause 0x1
	buffer_load_b64 v[38:39], v4, s[8:11], 0 offen
	buffer_load_b64 v[42:43], v3, s[8:11], 0 offen
	v_subrev_nc_u32_e32 v5, s28, v1
	v_lshlrev_b32_e32 v1, 1, v1
	s_lshl_b32 s6, s6, 1
	s_delay_alu instid0(VALU_DEP_2)
	v_lshlrev_b32_e32 v3, 1, v5
	s_clause 0x1
	buffer_load_b64 v[36:37], v0, s[0:3], 0 offen
	buffer_load_b64 v[40:41], v2, s[0:3], 0 offen
	s_clause 0x1
	buffer_load_b64 v[32:33], v1, s[8:11], 0 offen
	buffer_load_b64 v[34:35], v3, s[8:11], 0 offen
	ds_load_b128 v[12:15], v110
	ds_load_b128 v[8:11], v111 offset:16384
	ds_load_b128 v[0:3], v111 offset:16640
	;; [unrolled: 1-line block ×19, first 2 shown]
	s_waitcnt lgkmcnt(18)
	v_dual_dot2acc_f32_f16 v92, v13, v11 :: v_dual_dot2acc_f32_f16 v107, v12, v8
	v_dot2acc_f32_f16 v105, v12, v9
	v_dot2acc_f32_f16 v106, v12, v10
	v_dual_dot2acc_f32_f16 v104, v12, v11 :: v_dual_dot2acc_f32_f16 v95, v13, v8
	v_dot2acc_f32_f16 v88, v14, v9
	v_dot2acc_f32_f16 v93, v13, v9
	;; [unrolled: 1-line block ×3, first 2 shown]
	v_dual_dot2acc_f32_f16 v90, v14, v8 :: v_dual_dot2acc_f32_f16 v65, v15, v11
	v_dot2acc_f32_f16 v91, v14, v10
	v_dual_dot2acc_f32_f16 v89, v14, v11 :: v_dual_dot2acc_f32_f16 v66, v15, v8
	s_waitcnt lgkmcnt(17)
	v_dual_dot2acc_f32_f16 v64, v15, v9 :: v_dual_dot2acc_f32_f16 v103, v12, v0
	v_dual_dot2acc_f32_f16 v68, v15, v10 :: v_dual_dot2acc_f32_f16 v99, v13, v0
	;; [unrolled: 1-line block ×7, first 2 shown]
	s_waitcnt lgkmcnt(16)
	v_dual_dot2acc_f32_f16 v80, v14, v1 :: v_dual_dot2acc_f32_f16 v47, v4, v11
	v_dual_dot2acc_f32_f16 v82, v14, v2 :: v_dual_dot2acc_f32_f16 v45, v4, v9
	;; [unrolled: 1-line block ×17, first 2 shown]
	s_waitcnt lgkmcnt(13)
	v_dual_dot2acc_f32_f16 v78, v7, v2 :: v_dual_dot2acc_f32_f16 v95, v116, v16
	v_dual_dot2acc_f32_f16 v81, v7, v3 :: v_dual_dot2acc_f32_f16 v94, v116, v18
	;; [unrolled: 1-line block ×15, first 2 shown]
	s_waitcnt lgkmcnt(12)
	v_dual_dot2acc_f32_f16 v80, v117, v21 :: v_dual_dot2acc_f32_f16 v47, v24, v19
	v_dual_dot2acc_f32_f16 v82, v117, v22 :: v_dual_dot2acc_f32_f16 v45, v24, v17
	v_dual_dot2acc_f32_f16 v74, v118, v22 :: v_dual_dot2acc_f32_f16 v57, v25, v17
	v_dual_dot2acc_f32_f16 v72, v118, v23 :: v_dual_dot2acc_f32_f16 v85, v27, v16
	v_dual_dot2acc_f32_f16 v44, v24, v16 :: v_dual_dot2acc_f32_f16 v59, v25, v19
	v_dual_dot2acc_f32_f16 v46, v24, v18 :: v_dual_dot2acc_f32_f16 v61, v26, v16
	v_dual_dot2acc_f32_f16 v56, v25, v16 :: v_dual_dot2acc_f32_f16 v63, v26, v19
	v_dual_dot2acc_f32_f16 v58, v25, v18 :: v_dual_dot2acc_f32_f16 v83, v27, v17
	v_dual_dot2acc_f32_f16 v60, v26, v17 :: v_dual_dot2acc_f32_f16 v87, v27, v19
	v_dual_dot2acc_f32_f16 v62, v26, v18 :: v_dual_dot2acc_f32_f16 v49, v24, v21
	v_dual_dot2acc_f32_f16 v86, v27, v18 :: v_dual_dot2acc_f32_f16 v51, v24, v23
	v_dual_dot2acc_f32_f16 v48, v24, v20 :: v_dual_dot2acc_f32_f16 v55, v25, v23
	v_dual_dot2acc_f32_f16 v50, v24, v22 :: v_dual_dot2acc_f32_f16 v53, v25, v20
	v_dual_dot2acc_f32_f16 v52, v25, v21 :: v_dual_dot2acc_f32_f16 v69, v26, v20
	v_dual_dot2acc_f32_f16 v54, v25, v22 :: v_dual_dot2acc_f32_f16 v67, v26, v21
	v_dual_dot2acc_f32_f16 v70, v26, v22 :: v_dual_dot2acc_f32_f16 v77, v27, v21
	v_dual_dot2acc_f32_f16 v71, v26, v23 :: v_dual_dot2acc_f32_f16 v76, v27, v20
	s_waitcnt lgkmcnt(9)
	v_dual_dot2acc_f32_f16 v78, v27, v22 :: v_dual_dot2acc_f32_f16 v95, v128, v119
	v_dual_dot2acc_f32_f16 v81, v27, v23 :: v_dual_dot2acc_f32_f16 v94, v128, v121
	ds_load_b128 v[16:19], v110 offset:2560
	ds_load_b128 v[20:23], v111 offset:18944
	;; [unrolled: 1-line block ×3, first 2 shown]
	v_dual_dot2acc_f32_f16 v107, v127, v119 :: v_dual_dot2acc_f32_f16 v92, v128, v122
	v_dual_dot2acc_f32_f16 v105, v127, v120 :: v_dual_dot2acc_f32_f16 v90, v129, v119
	v_dual_dot2acc_f32_f16 v106, v127, v121 :: v_dual_dot2acc_f32_f16 v93, v128, v120
	v_dual_dot2acc_f32_f16 v104, v127, v122 :: v_dual_dot2acc_f32_f16 v91, v129, v121
	v_dual_dot2acc_f32_f16 v88, v129, v120 :: v_dual_dot2acc_f32_f16 v65, v130, v122
	v_dual_dot2acc_f32_f16 v89, v129, v122 :: v_dual_dot2acc_f32_f16 v66, v130, v119
	v_dual_dot2acc_f32_f16 v64, v130, v120 :: v_dual_dot2acc_f32_f16 v103, v127, v123
	v_dual_dot2acc_f32_f16 v68, v130, v121 :: v_dual_dot2acc_f32_f16 v99, v128, v123
	v_dual_dot2acc_f32_f16 v102, v127, v124 :: v_dual_dot2acc_f32_f16 v79, v129, v126
	v_dual_dot2acc_f32_f16 v101, v127, v125 :: v_dual_dot2acc_f32_f16 v96, v128, v126
	v_dual_dot2acc_f32_f16 v100, v127, v126 :: v_dual_dot2acc_f32_f16 v97, v128, v124
	v_dual_dot2acc_f32_f16 v98, v128, v125 :: v_dual_dot2acc_f32_f16 v75, v130, v123
	v_dual_dot2acc_f32_f16 v84, v129, v123 :: v_dual_dot2acc_f32_f16 v73, v130, v124
	s_waitcnt lgkmcnt(11)
	v_dual_dot2acc_f32_f16 v80, v129, v124 :: v_dual_dot2acc_f32_f16 v47, v131, v122
	v_dual_dot2acc_f32_f16 v82, v129, v125 :: v_dual_dot2acc_f32_f16 v45, v131, v120
	v_dual_dot2acc_f32_f16 v74, v130, v125 :: v_dual_dot2acc_f32_f16 v57, v132, v120
	v_dual_dot2acc_f32_f16 v72, v130, v126 :: v_dual_dot2acc_f32_f16 v61, v133, v119
	v_dual_dot2acc_f32_f16 v44, v131, v119 :: v_dual_dot2acc_f32_f16 v59, v132, v122
	v_dual_dot2acc_f32_f16 v46, v131, v121 :: v_dual_dot2acc_f32_f16 v63, v133, v122
	v_dual_dot2acc_f32_f16 v56, v132, v119 :: v_dual_dot2acc_f32_f16 v83, v134, v120
	v_dual_dot2acc_f32_f16 v58, v132, v121 :: v_dual_dot2acc_f32_f16 v85, v134, v119
	v_dual_dot2acc_f32_f16 v60, v133, v120 :: v_dual_dot2acc_f32_f16 v87, v134, v122
	v_dual_dot2acc_f32_f16 v62, v133, v121 :: v_dual_dot2acc_f32_f16 v49, v131, v124
	v_dual_dot2acc_f32_f16 v86, v134, v121 :: v_dual_dot2acc_f32_f16 v51, v131, v126
	v_dual_dot2acc_f32_f16 v48, v131, v123 :: v_dual_dot2acc_f32_f16 v55, v132, v126
	v_dual_dot2acc_f32_f16 v50, v131, v125 :: v_dual_dot2acc_f32_f16 v53, v132, v123
	v_dual_dot2acc_f32_f16 v52, v132, v124 :: v_dual_dot2acc_f32_f16 v69, v133, v123
	v_dual_dot2acc_f32_f16 v54, v132, v125 :: v_dual_dot2acc_f32_f16 v67, v133, v124
	v_dual_dot2acc_f32_f16 v70, v133, v125 :: v_dual_dot2acc_f32_f16 v77, v134, v124
	v_dual_dot2acc_f32_f16 v71, v133, v126 :: v_dual_dot2acc_f32_f16 v76, v134, v123
	s_waitcnt lgkmcnt(8)
	v_dual_dot2acc_f32_f16 v78, v134, v125 :: v_dual_dot2acc_f32_f16 v107, v143, v135
	v_dual_dot2acc_f32_f16 v81, v134, v126 :: v_dual_dot2acc_f32_f16 v106, v143, v137
	;; [unrolled: 1-line block ×15, first 2 shown]
	s_waitcnt lgkmcnt(7)
	v_dual_dot2acc_f32_f16 v80, v145, v140 :: v_dual_dot2acc_f32_f16 v47, v147, v138
	v_dual_dot2acc_f32_f16 v82, v145, v141 :: v_dual_dot2acc_f32_f16 v45, v147, v136
	;; [unrolled: 1-line block ×17, first 2 shown]
	s_waitcnt lgkmcnt(4)
	v_dual_dot2acc_f32_f16 v78, v150, v141 :: v_dual_dot2acc_f32_f16 v107, v159, v151
	v_dual_dot2acc_f32_f16 v81, v150, v142 :: v_dual_dot2acc_f32_f16 v106, v159, v153
	;; [unrolled: 1-line block ×15, first 2 shown]
	s_waitcnt lgkmcnt(3)
	v_dual_dot2acc_f32_f16 v80, v161, v156 :: v_dual_dot2acc_f32_f16 v47, v163, v154
	v_dual_dot2acc_f32_f16 v82, v161, v157 :: v_dual_dot2acc_f32_f16 v45, v163, v152
	;; [unrolled: 1-line block ×6, first 2 shown]
	s_waitcnt vmcnt(6)
	v_perm_b32 v1, v30, v28, 0x7060302
	v_perm_b32 v0, v30, v28, 0x5040100
	;; [unrolled: 1-line block ×4, first 2 shown]
	ds_load_b128 v[28:31], v110 offset:2816
	v_dual_dot2acc_f32_f16 v56, v164, v151 :: v_dual_dot2acc_f32_f16 v83, v166, v152
	v_dual_dot2acc_f32_f16 v58, v164, v153 :: v_dual_dot2acc_f32_f16 v85, v166, v151
	v_dual_dot2acc_f32_f16 v60, v165, v152 :: v_dual_dot2acc_f32_f16 v87, v166, v154
	v_dual_dot2acc_f32_f16 v62, v165, v153 :: v_dual_dot2acc_f32_f16 v49, v163, v156
	v_dual_dot2acc_f32_f16 v86, v166, v153 :: v_dual_dot2acc_f32_f16 v51, v163, v158
	v_dual_dot2acc_f32_f16 v48, v163, v155 :: v_dual_dot2acc_f32_f16 v55, v164, v158
	v_dual_dot2acc_f32_f16 v50, v163, v157 :: v_dual_dot2acc_f32_f16 v53, v164, v155
	v_dual_dot2acc_f32_f16 v52, v164, v156 :: v_dual_dot2acc_f32_f16 v69, v165, v155
	v_dual_dot2acc_f32_f16 v54, v164, v157 :: v_dual_dot2acc_f32_f16 v67, v165, v156
	v_dual_dot2acc_f32_f16 v70, v165, v157 :: v_dual_dot2acc_f32_f16 v77, v166, v156
	v_dual_dot2acc_f32_f16 v71, v165, v158 :: v_dual_dot2acc_f32_f16 v76, v166, v155
	s_waitcnt lgkmcnt(2)
	v_dual_dot2acc_f32_f16 v78, v166, v157 :: v_dual_dot2acc_f32_f16 v107, v16, v20
	v_dual_dot2acc_f32_f16 v81, v166, v158 :: v_dual_dot2acc_f32_f16 v104, v16, v23
	s_waitcnt vmcnt(0)
	v_perm_b32 v13, v32, v34, 0x7060302
	v_perm_b32 v12, v32, v34, 0x5040100
	;; [unrolled: 1-line block ×4, first 2 shown]
	v_dual_dot2acc_f32_f16 v105, v16, v21 :: v_dual_dot2acc_f32_f16 v94, v17, v22
	v_dual_dot2acc_f32_f16 v106, v16, v22 :: v_dual_dot2acc_f32_f16 v95, v17, v20
	;; [unrolled: 1-line block ×6, first 2 shown]
	s_waitcnt lgkmcnt(1)
	v_dual_dot2acc_f32_f16 v64, v19, v21 :: v_dual_dot2acc_f32_f16 v103, v16, v24
	v_dual_dot2acc_f32_f16 v68, v19, v22 :: v_dual_dot2acc_f32_f16 v99, v17, v24
	;; [unrolled: 1-line block ×7, first 2 shown]
	s_waitcnt lgkmcnt(0)
	v_dual_dot2acc_f32_f16 v80, v18, v25 :: v_dual_dot2acc_f32_f16 v47, v28, v23
	v_dual_dot2acc_f32_f16 v82, v18, v26 :: v_dual_dot2acc_f32_f16 v45, v28, v21
	;; [unrolled: 1-line block ×4, first 2 shown]
	ds_load_b128 v[16:19], v110 offset:3072
	v_dual_dot2acc_f32_f16 v44, v28, v20 :: v_dual_dot2acc_f32_f16 v59, v29, v23
	v_dual_dot2acc_f32_f16 v46, v28, v22 :: v_dual_dot2acc_f32_f16 v63, v30, v23
	;; [unrolled: 1-line block ×7, first 2 shown]
	ds_load_b128 v[32:35], v111 offset:19456
	ds_load_b128 v[20:23], v111 offset:19712
	v_dual_dot2acc_f32_f16 v48, v28, v24 :: v_dual_dot2acc_f32_f16 v55, v29, v27
	v_dual_dot2acc_f32_f16 v50, v28, v26 :: v_dual_dot2acc_f32_f16 v53, v29, v24
	;; [unrolled: 1-line block ×6, first 2 shown]
	v_dot2acc_f32_f16 v78, v31, v26
	v_dot2acc_f32_f16 v81, v31, v27
	ds_load_b128 v[24:27], v110 offset:3328
	ds_load_b128 v[28:31], v111 offset:19968
	v_perm_b32 v5, v42, v38, 0x7060302
	v_perm_b32 v4, v42, v38, 0x5040100
	s_waitcnt lgkmcnt(3)
	v_dot2acc_f32_f16 v107, v16, v32
	v_dual_dot2acc_f32_f16 v105, v16, v33 :: v_dual_dot2acc_f32_f16 v94, v17, v34
	v_dot2acc_f32_f16 v106, v16, v34
	v_dual_dot2acc_f32_f16 v104, v16, v35 :: v_dual_dot2acc_f32_f16 v95, v17, v32
	v_dual_dot2acc_f32_f16 v93, v17, v33 :: v_dual_dot2acc_f32_f16 v90, v18, v32
	;; [unrolled: 1-line block ×5, first 2 shown]
	s_waitcnt lgkmcnt(2)
	v_dual_dot2acc_f32_f16 v64, v19, v33 :: v_dual_dot2acc_f32_f16 v103, v16, v20
	v_dual_dot2acc_f32_f16 v68, v19, v34 :: v_dual_dot2acc_f32_f16 v99, v17, v20
	;; [unrolled: 1-line block ×7, first 2 shown]
	s_waitcnt lgkmcnt(1)
	v_dual_dot2acc_f32_f16 v80, v18, v21 :: v_dual_dot2acc_f32_f16 v47, v24, v35
	v_dual_dot2acc_f32_f16 v82, v18, v22 :: v_dual_dot2acc_f32_f16 v45, v24, v33
	;; [unrolled: 1-line block ×4, first 2 shown]
	ds_load_b128 v[16:19], v110 offset:3584
	v_dual_dot2acc_f32_f16 v44, v24, v32 :: v_dual_dot2acc_f32_f16 v59, v25, v35
	v_dual_dot2acc_f32_f16 v46, v24, v34 :: v_dual_dot2acc_f32_f16 v63, v26, v35
	;; [unrolled: 1-line block ×13, first 2 shown]
	ds_load_b128 v[32:35], v111 offset:20224
	v_dot2acc_f32_f16 v78, v27, v22
	v_dot2acc_f32_f16 v81, v27, v23
	ds_load_b128 v[20:23], v110 offset:3840
	s_waitcnt lgkmcnt(2)
	v_dot2acc_f32_f16 v106, v16, v30
	v_dot2acc_f32_f16 v107, v16, v28
	v_dual_dot2acc_f32_f16 v105, v16, v29 :: v_dual_dot2acc_f32_f16 v94, v17, v30
	v_dual_dot2acc_f32_f16 v104, v16, v31 :: v_dual_dot2acc_f32_f16 v95, v17, v28
	;; [unrolled: 1-line block ×6, first 2 shown]
	v_dot2acc_f32_f16 v64, v19, v29
	s_waitcnt lgkmcnt(1)
	v_dual_dot2acc_f32_f16 v68, v19, v30 :: v_dual_dot2acc_f32_f16 v99, v17, v32
	v_dot2acc_f32_f16 v103, v16, v32
	v_dual_dot2acc_f32_f16 v102, v16, v33 :: v_dual_dot2acc_f32_f16 v79, v18, v35
	v_dual_dot2acc_f32_f16 v101, v16, v34 :: v_dual_dot2acc_f32_f16 v96, v17, v35
	;; [unrolled: 1-line block ×5, first 2 shown]
	s_waitcnt lgkmcnt(0)
	v_dual_dot2acc_f32_f16 v80, v18, v33 :: v_dual_dot2acc_f32_f16 v47, v20, v31
	v_dual_dot2acc_f32_f16 v82, v18, v34 :: v_dual_dot2acc_f32_f16 v45, v20, v29
	;; [unrolled: 1-line block ×4, first 2 shown]
	ds_load_b128 v[16:19], v110 offset:4096
	v_dual_dot2acc_f32_f16 v44, v20, v28 :: v_dual_dot2acc_f32_f16 v59, v21, v31
	v_dual_dot2acc_f32_f16 v46, v20, v30 :: v_dual_dot2acc_f32_f16 v63, v22, v31
	;; [unrolled: 1-line block ×7, first 2 shown]
	ds_load_b128 v[24:27], v111 offset:20480
	ds_load_b128 v[28:31], v111 offset:20736
	v_dual_dot2acc_f32_f16 v48, v20, v32 :: v_dual_dot2acc_f32_f16 v55, v21, v35
	v_dual_dot2acc_f32_f16 v50, v20, v34 :: v_dual_dot2acc_f32_f16 v53, v21, v32
	;; [unrolled: 1-line block ×6, first 2 shown]
	v_dot2acc_f32_f16 v78, v23, v34
	v_dot2acc_f32_f16 v81, v23, v35
	ds_load_b128 v[20:23], v110 offset:4352
	ds_load_b128 v[32:35], v111 offset:20992
	v_perm_b32 v6, v43, v39, 0x5040100
	v_perm_b32 v7, v43, v39, 0x7060302
	s_waitcnt lgkmcnt(3)
	v_dot2acc_f32_f16 v107, v16, v24
	v_dual_dot2acc_f32_f16 v105, v16, v25 :: v_dual_dot2acc_f32_f16 v94, v17, v26
	v_dot2acc_f32_f16 v106, v16, v26
	v_dual_dot2acc_f32_f16 v104, v16, v27 :: v_dual_dot2acc_f32_f16 v95, v17, v24
	v_dual_dot2acc_f32_f16 v93, v17, v25 :: v_dual_dot2acc_f32_f16 v90, v18, v24
	;; [unrolled: 1-line block ×5, first 2 shown]
	s_waitcnt lgkmcnt(2)
	v_dual_dot2acc_f32_f16 v64, v19, v25 :: v_dual_dot2acc_f32_f16 v103, v16, v28
	v_dual_dot2acc_f32_f16 v68, v19, v26 :: v_dual_dot2acc_f32_f16 v99, v17, v28
	;; [unrolled: 1-line block ×7, first 2 shown]
	s_waitcnt lgkmcnt(1)
	v_dual_dot2acc_f32_f16 v80, v18, v29 :: v_dual_dot2acc_f32_f16 v47, v20, v27
	v_dual_dot2acc_f32_f16 v82, v18, v30 :: v_dual_dot2acc_f32_f16 v45, v20, v25
	;; [unrolled: 1-line block ×4, first 2 shown]
	ds_load_b128 v[16:19], v110 offset:4608
	v_dual_dot2acc_f32_f16 v44, v20, v24 :: v_dual_dot2acc_f32_f16 v59, v21, v27
	v_dual_dot2acc_f32_f16 v46, v20, v26 :: v_dual_dot2acc_f32_f16 v63, v22, v27
	;; [unrolled: 1-line block ×13, first 2 shown]
	ds_load_b128 v[24:27], v111 offset:21248
	v_dot2acc_f32_f16 v78, v23, v30
	v_dot2acc_f32_f16 v81, v23, v31
	ds_load_b128 v[20:23], v110 offset:4864
	s_waitcnt lgkmcnt(2)
	v_dot2acc_f32_f16 v106, v16, v34
	v_dot2acc_f32_f16 v107, v16, v32
	v_dual_dot2acc_f32_f16 v105, v16, v33 :: v_dual_dot2acc_f32_f16 v94, v17, v34
	v_dual_dot2acc_f32_f16 v104, v16, v35 :: v_dual_dot2acc_f32_f16 v95, v17, v32
	;; [unrolled: 1-line block ×6, first 2 shown]
	v_dot2acc_f32_f16 v64, v19, v33
	s_waitcnt lgkmcnt(1)
	v_dual_dot2acc_f32_f16 v68, v19, v34 :: v_dual_dot2acc_f32_f16 v99, v17, v24
	v_dot2acc_f32_f16 v103, v16, v24
	v_dual_dot2acc_f32_f16 v102, v16, v25 :: v_dual_dot2acc_f32_f16 v79, v18, v27
	v_dual_dot2acc_f32_f16 v101, v16, v26 :: v_dual_dot2acc_f32_f16 v96, v17, v27
	;; [unrolled: 1-line block ×5, first 2 shown]
	s_waitcnt lgkmcnt(0)
	v_dual_dot2acc_f32_f16 v80, v18, v25 :: v_dual_dot2acc_f32_f16 v47, v20, v35
	v_dual_dot2acc_f32_f16 v82, v18, v26 :: v_dual_dot2acc_f32_f16 v45, v20, v33
	;; [unrolled: 1-line block ×4, first 2 shown]
	ds_load_b128 v[16:19], v110 offset:5120
	v_dual_dot2acc_f32_f16 v44, v20, v32 :: v_dual_dot2acc_f32_f16 v59, v21, v35
	v_dual_dot2acc_f32_f16 v46, v20, v34 :: v_dual_dot2acc_f32_f16 v63, v22, v35
	;; [unrolled: 1-line block ×7, first 2 shown]
	ds_load_b128 v[28:31], v111 offset:21504
	ds_load_b128 v[32:35], v111 offset:21760
	v_dual_dot2acc_f32_f16 v48, v20, v24 :: v_dual_dot2acc_f32_f16 v55, v21, v27
	v_dual_dot2acc_f32_f16 v50, v20, v26 :: v_dual_dot2acc_f32_f16 v53, v21, v24
	;; [unrolled: 1-line block ×6, first 2 shown]
	v_dot2acc_f32_f16 v78, v23, v26
	v_dot2acc_f32_f16 v81, v23, v27
	ds_load_b128 v[20:23], v110 offset:5376
	ds_load_b128 v[24:27], v111 offset:22016
	v_perm_b32 v9, v36, v40, 0x7060302
	v_perm_b32 v8, v36, v40, 0x5040100
	s_waitcnt lgkmcnt(3)
	v_dot2acc_f32_f16 v107, v16, v28
	v_dual_dot2acc_f32_f16 v105, v16, v29 :: v_dual_dot2acc_f32_f16 v94, v17, v30
	v_dot2acc_f32_f16 v106, v16, v30
	v_dual_dot2acc_f32_f16 v104, v16, v31 :: v_dual_dot2acc_f32_f16 v95, v17, v28
	v_dual_dot2acc_f32_f16 v93, v17, v29 :: v_dual_dot2acc_f32_f16 v90, v18, v28
	;; [unrolled: 1-line block ×5, first 2 shown]
	s_waitcnt lgkmcnt(2)
	v_dual_dot2acc_f32_f16 v64, v19, v29 :: v_dual_dot2acc_f32_f16 v103, v16, v32
	v_dual_dot2acc_f32_f16 v68, v19, v30 :: v_dual_dot2acc_f32_f16 v99, v17, v32
	;; [unrolled: 1-line block ×7, first 2 shown]
	s_waitcnt lgkmcnt(1)
	v_dual_dot2acc_f32_f16 v80, v18, v33 :: v_dual_dot2acc_f32_f16 v47, v20, v31
	v_dual_dot2acc_f32_f16 v82, v18, v34 :: v_dual_dot2acc_f32_f16 v45, v20, v29
	;; [unrolled: 1-line block ×4, first 2 shown]
	ds_load_b128 v[16:19], v110 offset:5632
	v_dual_dot2acc_f32_f16 v44, v20, v28 :: v_dual_dot2acc_f32_f16 v59, v21, v31
	v_dual_dot2acc_f32_f16 v46, v20, v30 :: v_dual_dot2acc_f32_f16 v63, v22, v31
	;; [unrolled: 1-line block ×13, first 2 shown]
	ds_load_b128 v[28:31], v111 offset:22272
	v_dot2acc_f32_f16 v78, v23, v34
	v_dot2acc_f32_f16 v81, v23, v35
	ds_load_b128 v[20:23], v110 offset:5888
	s_waitcnt lgkmcnt(2)
	v_dot2acc_f32_f16 v106, v16, v26
	v_dot2acc_f32_f16 v107, v16, v24
	v_dual_dot2acc_f32_f16 v105, v16, v25 :: v_dual_dot2acc_f32_f16 v94, v17, v26
	v_dual_dot2acc_f32_f16 v104, v16, v27 :: v_dual_dot2acc_f32_f16 v95, v17, v24
	;; [unrolled: 1-line block ×6, first 2 shown]
	v_dot2acc_f32_f16 v64, v19, v25
	s_waitcnt lgkmcnt(1)
	v_dual_dot2acc_f32_f16 v68, v19, v26 :: v_dual_dot2acc_f32_f16 v99, v17, v28
	v_dot2acc_f32_f16 v103, v16, v28
	v_dual_dot2acc_f32_f16 v102, v16, v29 :: v_dual_dot2acc_f32_f16 v79, v18, v31
	v_dual_dot2acc_f32_f16 v101, v16, v30 :: v_dual_dot2acc_f32_f16 v96, v17, v31
	;; [unrolled: 1-line block ×5, first 2 shown]
	s_waitcnt lgkmcnt(0)
	v_dual_dot2acc_f32_f16 v80, v18, v29 :: v_dual_dot2acc_f32_f16 v47, v20, v27
	v_dual_dot2acc_f32_f16 v82, v18, v30 :: v_dual_dot2acc_f32_f16 v45, v20, v25
	;; [unrolled: 1-line block ×4, first 2 shown]
	ds_load_b128 v[16:19], v110 offset:6144
	v_dual_dot2acc_f32_f16 v44, v20, v24 :: v_dual_dot2acc_f32_f16 v59, v21, v27
	v_dual_dot2acc_f32_f16 v46, v20, v26 :: v_dual_dot2acc_f32_f16 v63, v22, v27
	;; [unrolled: 1-line block ×7, first 2 shown]
	ds_load_b128 v[32:35], v111 offset:22528
	ds_load_b128 v[24:27], v111 offset:22784
	v_dual_dot2acc_f32_f16 v48, v20, v28 :: v_dual_dot2acc_f32_f16 v55, v21, v31
	v_dual_dot2acc_f32_f16 v50, v20, v30 :: v_dual_dot2acc_f32_f16 v53, v21, v28
	;; [unrolled: 1-line block ×6, first 2 shown]
	v_dot2acc_f32_f16 v78, v23, v30
	v_dot2acc_f32_f16 v81, v23, v31
	ds_load_b128 v[20:23], v110 offset:6400
	ds_load_b128 v[28:31], v111 offset:23040
	v_perm_b32 v10, v37, v41, 0x5040100
	v_perm_b32 v11, v37, v41, 0x7060302
	s_waitcnt lgkmcnt(3)
	v_dot2acc_f32_f16 v107, v16, v32
	v_dual_dot2acc_f32_f16 v105, v16, v33 :: v_dual_dot2acc_f32_f16 v94, v17, v34
	v_dot2acc_f32_f16 v106, v16, v34
	v_dual_dot2acc_f32_f16 v104, v16, v35 :: v_dual_dot2acc_f32_f16 v95, v17, v32
	v_dual_dot2acc_f32_f16 v93, v17, v33 :: v_dual_dot2acc_f32_f16 v90, v18, v32
	;; [unrolled: 1-line block ×5, first 2 shown]
	s_waitcnt lgkmcnt(2)
	v_dual_dot2acc_f32_f16 v64, v19, v33 :: v_dual_dot2acc_f32_f16 v103, v16, v24
	v_dual_dot2acc_f32_f16 v68, v19, v34 :: v_dual_dot2acc_f32_f16 v99, v17, v24
	;; [unrolled: 1-line block ×7, first 2 shown]
	s_waitcnt lgkmcnt(1)
	v_dual_dot2acc_f32_f16 v80, v18, v25 :: v_dual_dot2acc_f32_f16 v47, v20, v35
	v_dual_dot2acc_f32_f16 v82, v18, v26 :: v_dual_dot2acc_f32_f16 v45, v20, v33
	;; [unrolled: 1-line block ×4, first 2 shown]
	ds_load_b128 v[16:19], v110 offset:6656
	v_dual_dot2acc_f32_f16 v44, v20, v32 :: v_dual_dot2acc_f32_f16 v59, v21, v35
	v_dual_dot2acc_f32_f16 v46, v20, v34 :: v_dual_dot2acc_f32_f16 v63, v22, v35
	;; [unrolled: 1-line block ×13, first 2 shown]
	ds_load_b128 v[32:35], v111 offset:23296
	v_dot2acc_f32_f16 v78, v23, v26
	v_dot2acc_f32_f16 v81, v23, v27
	ds_load_b128 v[20:23], v110 offset:6912
	s_waitcnt lgkmcnt(2)
	v_dot2acc_f32_f16 v106, v16, v30
	v_dot2acc_f32_f16 v107, v16, v28
	v_dual_dot2acc_f32_f16 v105, v16, v29 :: v_dual_dot2acc_f32_f16 v94, v17, v30
	v_dual_dot2acc_f32_f16 v104, v16, v31 :: v_dual_dot2acc_f32_f16 v95, v17, v28
	;; [unrolled: 1-line block ×6, first 2 shown]
	v_dot2acc_f32_f16 v64, v19, v29
	s_waitcnt lgkmcnt(1)
	v_dual_dot2acc_f32_f16 v68, v19, v30 :: v_dual_dot2acc_f32_f16 v99, v17, v32
	v_dot2acc_f32_f16 v103, v16, v32
	v_dual_dot2acc_f32_f16 v102, v16, v33 :: v_dual_dot2acc_f32_f16 v79, v18, v35
	v_dual_dot2acc_f32_f16 v101, v16, v34 :: v_dual_dot2acc_f32_f16 v96, v17, v35
	;; [unrolled: 1-line block ×5, first 2 shown]
	s_waitcnt lgkmcnt(0)
	v_dual_dot2acc_f32_f16 v80, v18, v33 :: v_dual_dot2acc_f32_f16 v47, v20, v31
	v_dual_dot2acc_f32_f16 v82, v18, v34 :: v_dual_dot2acc_f32_f16 v45, v20, v29
	;; [unrolled: 1-line block ×4, first 2 shown]
	ds_load_b128 v[16:19], v110 offset:7168
	v_dual_dot2acc_f32_f16 v44, v20, v28 :: v_dual_dot2acc_f32_f16 v59, v21, v31
	v_dual_dot2acc_f32_f16 v46, v20, v30 :: v_dual_dot2acc_f32_f16 v63, v22, v31
	;; [unrolled: 1-line block ×7, first 2 shown]
	ds_load_b128 v[24:27], v111 offset:23552
	ds_load_b128 v[28:31], v111 offset:23808
	v_dual_dot2acc_f32_f16 v48, v20, v32 :: v_dual_dot2acc_f32_f16 v55, v21, v35
	v_dual_dot2acc_f32_f16 v50, v20, v34 :: v_dual_dot2acc_f32_f16 v53, v21, v32
	;; [unrolled: 1-line block ×6, first 2 shown]
	v_dot2acc_f32_f16 v78, v23, v34
	v_dot2acc_f32_f16 v81, v23, v35
	ds_load_b128 v[20:23], v110 offset:7424
	ds_load_b128 v[32:35], v111 offset:24064
	s_waitcnt lgkmcnt(3)
	v_dot2acc_f32_f16 v107, v16, v24
	v_dual_dot2acc_f32_f16 v105, v16, v25 :: v_dual_dot2acc_f32_f16 v94, v17, v26
	v_dot2acc_f32_f16 v106, v16, v26
	v_dual_dot2acc_f32_f16 v104, v16, v27 :: v_dual_dot2acc_f32_f16 v95, v17, v24
	v_dual_dot2acc_f32_f16 v93, v17, v25 :: v_dual_dot2acc_f32_f16 v90, v18, v24
	;; [unrolled: 1-line block ×5, first 2 shown]
	s_waitcnt lgkmcnt(2)
	v_dual_dot2acc_f32_f16 v64, v19, v25 :: v_dual_dot2acc_f32_f16 v103, v16, v28
	v_dual_dot2acc_f32_f16 v68, v19, v26 :: v_dual_dot2acc_f32_f16 v99, v17, v28
	;; [unrolled: 1-line block ×7, first 2 shown]
	s_waitcnt lgkmcnt(1)
	v_dual_dot2acc_f32_f16 v80, v18, v29 :: v_dual_dot2acc_f32_f16 v47, v20, v27
	v_dual_dot2acc_f32_f16 v82, v18, v30 :: v_dual_dot2acc_f32_f16 v45, v20, v25
	;; [unrolled: 1-line block ×4, first 2 shown]
	ds_load_b128 v[16:19], v110 offset:7680
	v_dual_dot2acc_f32_f16 v44, v20, v24 :: v_dual_dot2acc_f32_f16 v59, v21, v27
	v_dual_dot2acc_f32_f16 v46, v20, v26 :: v_dual_dot2acc_f32_f16 v63, v22, v27
	;; [unrolled: 1-line block ×13, first 2 shown]
	ds_load_b128 v[24:27], v111 offset:24320
	v_dot2acc_f32_f16 v78, v23, v30
	v_dot2acc_f32_f16 v81, v23, v31
	ds_load_b128 v[20:23], v110 offset:7936
	s_waitcnt lgkmcnt(2)
	v_dot2acc_f32_f16 v106, v16, v34
	ds_store_b128 v112, v[0:3] offset:8192
	ds_store_b128 v112, v[4:7] offset:24576
	;; [unrolled: 1-line block ×4, first 2 shown]
	s_waitcnt lgkmcnt(0)
	s_barrier
	ds_load_b128 v[0:3], v110 offset:8192
	ds_load_b128 v[4:7], v111 offset:24576
	ds_load_b128 v[8:11], v111 offset:24832
	ds_load_b128 v[12:15], v110 offset:8448
	v_dot2acc_f32_f16 v107, v16, v32
	v_dual_dot2acc_f32_f16 v105, v16, v33 :: v_dual_dot2acc_f32_f16 v94, v17, v34
	v_dual_dot2acc_f32_f16 v104, v16, v35 :: v_dual_dot2acc_f32_f16 v95, v17, v32
	v_dual_dot2acc_f32_f16 v93, v17, v33 :: v_dual_dot2acc_f32_f16 v90, v18, v32
	v_dual_dot2acc_f32_f16 v92, v17, v35 :: v_dual_dot2acc_f32_f16 v91, v18, v34
	v_dual_dot2acc_f32_f16 v88, v18, v33 :: v_dual_dot2acc_f32_f16 v65, v19, v35
	v_dual_dot2acc_f32_f16 v89, v18, v35 :: v_dual_dot2acc_f32_f16 v66, v19, v32
	v_dual_dot2acc_f32_f16 v64, v19, v33 :: v_dual_dot2acc_f32_f16 v103, v16, v24
	v_dual_dot2acc_f32_f16 v68, v19, v34 :: v_dual_dot2acc_f32_f16 v99, v17, v24
	v_dual_dot2acc_f32_f16 v102, v16, v25 :: v_dual_dot2acc_f32_f16 v79, v18, v27
	v_dual_dot2acc_f32_f16 v101, v16, v26 :: v_dual_dot2acc_f32_f16 v96, v17, v27
	v_dual_dot2acc_f32_f16 v100, v16, v27 :: v_dual_dot2acc_f32_f16 v97, v17, v25
	v_dual_dot2acc_f32_f16 v98, v17, v26 :: v_dual_dot2acc_f32_f16 v75, v19, v24
	v_dual_dot2acc_f32_f16 v84, v18, v24 :: v_dual_dot2acc_f32_f16 v73, v19, v25
	v_dual_dot2acc_f32_f16 v80, v18, v25 :: v_dual_dot2acc_f32_f16 v47, v20, v35
	v_dual_dot2acc_f32_f16 v82, v18, v26 :: v_dual_dot2acc_f32_f16 v45, v20, v33
	v_dual_dot2acc_f32_f16 v74, v19, v26 :: v_dual_dot2acc_f32_f16 v57, v21, v33
	v_dual_dot2acc_f32_f16 v72, v19, v27 :: v_dual_dot2acc_f32_f16 v61, v22, v32
	v_dual_dot2acc_f32_f16 v44, v20, v32 :: v_dual_dot2acc_f32_f16 v59, v21, v35
	v_dual_dot2acc_f32_f16 v46, v20, v34 :: v_dual_dot2acc_f32_f16 v63, v22, v35
	v_dual_dot2acc_f32_f16 v56, v21, v32 :: v_dual_dot2acc_f32_f16 v83, v23, v33
	v_dual_dot2acc_f32_f16 v58, v21, v34 :: v_dual_dot2acc_f32_f16 v85, v23, v32
	v_dual_dot2acc_f32_f16 v60, v22, v33 :: v_dual_dot2acc_f32_f16 v87, v23, v35
	v_dual_dot2acc_f32_f16 v62, v22, v34 :: v_dual_dot2acc_f32_f16 v49, v20, v25
	v_dual_dot2acc_f32_f16 v86, v23, v34 :: v_dual_dot2acc_f32_f16 v51, v20, v27
	v_dual_dot2acc_f32_f16 v48, v20, v24 :: v_dual_dot2acc_f32_f16 v55, v21, v27
	v_dual_dot2acc_f32_f16 v50, v20, v26 :: v_dual_dot2acc_f32_f16 v53, v21, v24
	v_dual_dot2acc_f32_f16 v52, v21, v25 :: v_dual_dot2acc_f32_f16 v69, v22, v24
	v_dual_dot2acc_f32_f16 v54, v21, v26 :: v_dual_dot2acc_f32_f16 v67, v22, v25
	v_dual_dot2acc_f32_f16 v70, v22, v26 :: v_dual_dot2acc_f32_f16 v77, v23, v25
	v_dual_dot2acc_f32_f16 v71, v22, v27 :: v_dual_dot2acc_f32_f16 v76, v23, v24
	s_waitcnt lgkmcnt(2)
	v_dual_dot2acc_f32_f16 v78, v23, v26 :: v_dual_dot2acc_f32_f16 v107, v0, v4
	v_dual_dot2acc_f32_f16 v81, v23, v27 :: v_dual_dot2acc_f32_f16 v106, v0, v6
	;; [unrolled: 1-line block ×8, first 2 shown]
	ds_load_b128 v[16:19], v111 offset:25088
	s_waitcnt lgkmcnt(2)
	v_dual_dot2acc_f32_f16 v64, v3, v5 :: v_dual_dot2acc_f32_f16 v103, v0, v8
	v_dual_dot2acc_f32_f16 v68, v3, v6 :: v_dual_dot2acc_f32_f16 v99, v1, v8
	v_dual_dot2acc_f32_f16 v102, v0, v9 :: v_dual_dot2acc_f32_f16 v79, v2, v11
	v_dual_dot2acc_f32_f16 v101, v0, v10 :: v_dual_dot2acc_f32_f16 v96, v1, v11
	v_dual_dot2acc_f32_f16 v100, v0, v11 :: v_dual_dot2acc_f32_f16 v97, v1, v9
	v_dual_dot2acc_f32_f16 v98, v1, v10 :: v_dual_dot2acc_f32_f16 v75, v3, v8
	v_dual_dot2acc_f32_f16 v84, v2, v8 :: v_dual_dot2acc_f32_f16 v73, v3, v9
	v_dot2acc_f32_f16 v80, v2, v9
	v_dot2acc_f32_f16 v82, v2, v10
	v_dot2acc_f32_f16 v74, v3, v10
	v_dot2acc_f32_f16 v72, v3, v11
	ds_load_b128 v[0:3], v110 offset:8704
	s_waitcnt lgkmcnt(2)
	v_dot2acc_f32_f16 v61, v14, v4
	v_dual_dot2acc_f32_f16 v44, v12, v4 :: v_dual_dot2acc_f32_f16 v59, v13, v7
	v_dot2acc_f32_f16 v45, v12, v5
	v_dual_dot2acc_f32_f16 v46, v12, v6 :: v_dual_dot2acc_f32_f16 v63, v14, v7
	v_dual_dot2acc_f32_f16 v47, v12, v7 :: v_dual_dot2acc_f32_f16 v56, v13, v4
	v_dot2acc_f32_f16 v83, v15, v5
	v_dot2acc_f32_f16 v57, v13, v5
	v_dual_dot2acc_f32_f16 v58, v13, v6 :: v_dual_dot2acc_f32_f16 v85, v15, v4
	v_dual_dot2acc_f32_f16 v60, v14, v5 :: v_dual_dot2acc_f32_f16 v87, v15, v7
	v_dual_dot2acc_f32_f16 v62, v14, v6 :: v_dual_dot2acc_f32_f16 v49, v12, v9
	v_dual_dot2acc_f32_f16 v86, v15, v6 :: v_dual_dot2acc_f32_f16 v51, v12, v11
	v_dual_dot2acc_f32_f16 v48, v12, v8 :: v_dual_dot2acc_f32_f16 v55, v13, v11
	v_dual_dot2acc_f32_f16 v50, v12, v10 :: v_dual_dot2acc_f32_f16 v53, v13, v8
	v_dual_dot2acc_f32_f16 v52, v13, v9 :: v_dual_dot2acc_f32_f16 v69, v14, v8
	v_dual_dot2acc_f32_f16 v54, v13, v10 :: v_dual_dot2acc_f32_f16 v67, v14, v9
	v_dual_dot2acc_f32_f16 v70, v14, v10 :: v_dual_dot2acc_f32_f16 v77, v15, v9
	v_dual_dot2acc_f32_f16 v71, v14, v11 :: v_dual_dot2acc_f32_f16 v76, v15, v8
	ds_load_b128 v[4:7], v111 offset:25344
	s_waitcnt lgkmcnt(1)
	v_dual_dot2acc_f32_f16 v78, v15, v10 :: v_dual_dot2acc_f32_f16 v107, v0, v16
	v_dual_dot2acc_f32_f16 v81, v15, v11 :: v_dual_dot2acc_f32_f16 v106, v0, v18
	ds_load_b128 v[8:11], v110 offset:8960
	v_dual_dot2acc_f32_f16 v105, v0, v17 :: v_dual_dot2acc_f32_f16 v94, v1, v18
	v_dual_dot2acc_f32_f16 v104, v0, v19 :: v_dual_dot2acc_f32_f16 v95, v1, v16
	v_dual_dot2acc_f32_f16 v93, v1, v17 :: v_dual_dot2acc_f32_f16 v90, v2, v16
	v_dual_dot2acc_f32_f16 v92, v1, v19 :: v_dual_dot2acc_f32_f16 v91, v2, v18
	v_dual_dot2acc_f32_f16 v88, v2, v17 :: v_dual_dot2acc_f32_f16 v65, v3, v19
	v_dual_dot2acc_f32_f16 v89, v2, v19 :: v_dual_dot2acc_f32_f16 v66, v3, v16
	ds_load_b128 v[12:15], v111 offset:25600
	s_waitcnt lgkmcnt(2)
	v_dual_dot2acc_f32_f16 v64, v3, v17 :: v_dual_dot2acc_f32_f16 v103, v0, v4
	v_dual_dot2acc_f32_f16 v68, v3, v18 :: v_dual_dot2acc_f32_f16 v99, v1, v4
	v_dual_dot2acc_f32_f16 v102, v0, v5 :: v_dual_dot2acc_f32_f16 v79, v2, v7
	v_dual_dot2acc_f32_f16 v101, v0, v6 :: v_dual_dot2acc_f32_f16 v96, v1, v7
	v_dual_dot2acc_f32_f16 v100, v0, v7 :: v_dual_dot2acc_f32_f16 v97, v1, v5
	v_dual_dot2acc_f32_f16 v98, v1, v6 :: v_dual_dot2acc_f32_f16 v75, v3, v4
	v_dual_dot2acc_f32_f16 v84, v2, v4 :: v_dual_dot2acc_f32_f16 v73, v3, v5
	v_dot2acc_f32_f16 v80, v2, v5
	v_dot2acc_f32_f16 v82, v2, v6
	v_dot2acc_f32_f16 v74, v3, v6
	v_dot2acc_f32_f16 v72, v3, v7
	ds_load_b128 v[0:3], v110 offset:9216
	s_waitcnt lgkmcnt(2)
	v_dot2acc_f32_f16 v61, v10, v16
	v_dual_dot2acc_f32_f16 v44, v8, v16 :: v_dual_dot2acc_f32_f16 v59, v9, v19
	v_dot2acc_f32_f16 v45, v8, v17
	v_dual_dot2acc_f32_f16 v46, v8, v18 :: v_dual_dot2acc_f32_f16 v63, v10, v19
	v_dual_dot2acc_f32_f16 v47, v8, v19 :: v_dual_dot2acc_f32_f16 v56, v9, v16
	v_dot2acc_f32_f16 v83, v11, v17
	v_dot2acc_f32_f16 v57, v9, v17
	v_dual_dot2acc_f32_f16 v58, v9, v18 :: v_dual_dot2acc_f32_f16 v85, v11, v16
	v_dual_dot2acc_f32_f16 v60, v10, v17 :: v_dual_dot2acc_f32_f16 v87, v11, v19
	v_dual_dot2acc_f32_f16 v62, v10, v18 :: v_dual_dot2acc_f32_f16 v49, v8, v5
	v_dual_dot2acc_f32_f16 v86, v11, v18 :: v_dual_dot2acc_f32_f16 v51, v8, v7
	v_dual_dot2acc_f32_f16 v48, v8, v4 :: v_dual_dot2acc_f32_f16 v55, v9, v7
	v_dual_dot2acc_f32_f16 v50, v8, v6 :: v_dual_dot2acc_f32_f16 v53, v9, v4
	v_dual_dot2acc_f32_f16 v52, v9, v5 :: v_dual_dot2acc_f32_f16 v69, v10, v4
	v_dual_dot2acc_f32_f16 v54, v9, v6 :: v_dual_dot2acc_f32_f16 v67, v10, v5
	v_dual_dot2acc_f32_f16 v70, v10, v6 :: v_dual_dot2acc_f32_f16 v77, v11, v5
	v_dual_dot2acc_f32_f16 v71, v10, v7 :: v_dual_dot2acc_f32_f16 v76, v11, v4
	ds_load_b128 v[16:19], v111 offset:25856
	s_waitcnt lgkmcnt(1)
	v_dual_dot2acc_f32_f16 v78, v11, v6 :: v_dual_dot2acc_f32_f16 v107, v0, v12
	v_dual_dot2acc_f32_f16 v81, v11, v7 :: v_dual_dot2acc_f32_f16 v106, v0, v14
	ds_load_b128 v[4:7], v110 offset:9472
	v_dual_dot2acc_f32_f16 v105, v0, v13 :: v_dual_dot2acc_f32_f16 v94, v1, v14
	v_dual_dot2acc_f32_f16 v104, v0, v15 :: v_dual_dot2acc_f32_f16 v95, v1, v12
	v_dual_dot2acc_f32_f16 v93, v1, v13 :: v_dual_dot2acc_f32_f16 v90, v2, v12
	v_dual_dot2acc_f32_f16 v92, v1, v15 :: v_dual_dot2acc_f32_f16 v91, v2, v14
	v_dual_dot2acc_f32_f16 v88, v2, v13 :: v_dual_dot2acc_f32_f16 v65, v3, v15
	v_dual_dot2acc_f32_f16 v89, v2, v15 :: v_dual_dot2acc_f32_f16 v66, v3, v12
	;; [unrolled: 43-line block ×14, first 2 shown]
	v_dot2acc_f32_f16 v64, v3, v13
	s_waitcnt lgkmcnt(1)
	v_dual_dot2acc_f32_f16 v68, v3, v14 :: v_dual_dot2acc_f32_f16 v99, v1, v16
	v_dot2acc_f32_f16 v103, v0, v16
	v_dual_dot2acc_f32_f16 v102, v0, v17 :: v_dual_dot2acc_f32_f16 v79, v2, v19
	v_dual_dot2acc_f32_f16 v101, v0, v18 :: v_dual_dot2acc_f32_f16 v96, v1, v19
	;; [unrolled: 1-line block ×5, first 2 shown]
	v_dot2acc_f32_f16 v80, v2, v17
	v_dot2acc_f32_f16 v82, v2, v18
	;; [unrolled: 1-line block ×4, first 2 shown]
	ds_load_b128 v[0:3], v110 offset:15872
	s_waitcnt lgkmcnt(1)
	v_dot2acc_f32_f16 v61, v6, v12
	v_dual_dot2acc_f32_f16 v44, v4, v12 :: v_dual_dot2acc_f32_f16 v59, v5, v15
	v_dot2acc_f32_f16 v45, v4, v13
	v_dual_dot2acc_f32_f16 v46, v4, v14 :: v_dual_dot2acc_f32_f16 v63, v6, v15
	v_dual_dot2acc_f32_f16 v47, v4, v15 :: v_dual_dot2acc_f32_f16 v56, v5, v12
	v_dot2acc_f32_f16 v83, v7, v13
	v_dot2acc_f32_f16 v57, v5, v13
	v_dual_dot2acc_f32_f16 v58, v5, v14 :: v_dual_dot2acc_f32_f16 v85, v7, v12
	v_dual_dot2acc_f32_f16 v60, v6, v13 :: v_dual_dot2acc_f32_f16 v87, v7, v15
	;; [unrolled: 1-line block ×4, first 2 shown]
	ds_load_b128 v[8:11], v111 offset:32256
	ds_load_b128 v[12:15], v111 offset:32512
	v_dual_dot2acc_f32_f16 v48, v4, v16 :: v_dual_dot2acc_f32_f16 v55, v5, v19
	v_dual_dot2acc_f32_f16 v50, v4, v18 :: v_dual_dot2acc_f32_f16 v53, v5, v16
	;; [unrolled: 1-line block ×6, first 2 shown]
	v_dot2acc_f32_f16 v78, v7, v18
	v_dot2acc_f32_f16 v81, v7, v19
	ds_load_b128 v[4:7], v110 offset:16128
	s_waitcnt lgkmcnt(2)
	v_dot2acc_f32_f16 v106, v0, v10
	v_dot2acc_f32_f16 v107, v0, v8
	v_dual_dot2acc_f32_f16 v105, v0, v9 :: v_dual_dot2acc_f32_f16 v94, v1, v10
	v_dual_dot2acc_f32_f16 v104, v0, v11 :: v_dual_dot2acc_f32_f16 v95, v1, v8
	s_waitcnt lgkmcnt(1)
	v_dual_dot2acc_f32_f16 v64, v3, v9 :: v_dual_dot2acc_f32_f16 v103, v0, v12
	v_dual_dot2acc_f32_f16 v102, v0, v13 :: v_dual_dot2acc_f32_f16 v79, v2, v15
	;; [unrolled: 1-line block ×4, first 2 shown]
	v_add_nc_u32_e32 v0, s13, v109
	v_dual_dot2acc_f32_f16 v93, v1, v9 :: v_dual_dot2acc_f32_f16 v90, v2, v8
	s_waitcnt lgkmcnt(0)
	v_dual_dot2acc_f32_f16 v69, v6, v12 :: v_dual_dot2acc_f32_f16 v92, v1, v11
	v_dot2acc_f32_f16 v91, v2, v10
	v_mul_lo_u32 v0, v0, s12
	v_dual_dot2acc_f32_f16 v88, v2, v9 :: v_dual_dot2acc_f32_f16 v65, v3, v11
	v_dual_dot2acc_f32_f16 v89, v2, v11 :: v_dual_dot2acc_f32_f16 v66, v3, v8
	;; [unrolled: 1-line block ×19, first 2 shown]
	v_cvt_f16_f32_e32 v2, v107
	v_cvt_f16_f32_e32 v1, v106
	v_cvt_f16_f32_e32 v3, v104
	v_cvt_f16_f32_e32 v4, v105
	v_add3_u32 v5, s7, v108, v0
	s_mov_b32 s7, 0x31004000
	v_dot2acc_f32_f16 v81, v7, v15
	v_pack_b32_f16 v1, v1, v3
	v_pack_b32_f16 v0, v2, v4
	v_lshlrev_b32_e32 v2, 1, v5
	v_add_nc_u32_e32 v4, 64, v5
	v_cvt_f16_f32_e32 v3, v100
	v_dual_dot2acc_f32_f16 v60, v6, v9 :: v_dual_dot2acc_f32_f16 v87, v7, v11
	buffer_store_b64 v[0:1], v2, s[4:7], 0 offen
	v_cvt_f16_f32_e32 v0, v103
	v_cvt_f16_f32_e32 v2, v102
	;; [unrolled: 1-line block ×3, first 2 shown]
	v_dual_dot2acc_f32_f16 v70, v6, v14 :: v_dual_dot2acc_f32_f16 v77, v7, v13
	v_dot2acc_f32_f16 v76, v7, v12
	v_dot2acc_f32_f16 v78, v7, v14
	v_cvt_f16_f32_e32 v6, v99
	v_cvt_f16_f32_e32 v7, v98
	;; [unrolled: 1-line block ×4, first 2 shown]
	v_pack_b32_f16 v1, v1, v3
	v_pack_b32_f16 v0, v0, v2
	v_lshlrev_b32_e32 v10, 1, v4
	v_pack_b32_f16 v3, v7, v8
	v_pack_b32_f16 v2, v6, v9
	v_add_lshl_u32 v4, v4, s12, 1
	v_cvt_f16_f32_e32 v7, v94
	v_cvt_f16_f32_e32 v8, v92
	s_clause 0x1
	buffer_store_b64 v[0:1], v10, s[4:7], 0 offen
	buffer_store_b64 v[2:3], v4, s[4:7], 0 offen
	v_add_nc_u32_e32 v2, s12, v5
	v_cvt_f16_f32_e32 v6, v95
	v_cvt_f16_f32_e32 v9, v93
	v_pack_b32_f16 v1, v7, v8
	v_cvt_f16_f32_e32 v3, v91
	v_cvt_f16_f32_e32 v4, v89
	v_add_nc_u32_e32 v7, s12, v2
	v_pack_b32_f16 v0, v6, v9
	v_lshlrev_b32_e32 v6, 1, v2
	v_cvt_f16_f32_e32 v2, v90
	v_cvt_f16_f32_e32 v5, v88
	v_add_nc_u32_e32 v11, 64, v7
	v_pack_b32_f16 v3, v3, v4
	v_cvt_f16_f32_e32 v4, v84
	v_cvt_f16_f32_e32 v8, v82
	;; [unrolled: 1-line block ×4, first 2 shown]
	v_pack_b32_f16 v2, v2, v5
	v_lshlrev_b32_e32 v12, 1, v7
	v_cvt_f16_f32_e32 v13, v72
	v_pack_b32_f16 v5, v8, v9
	v_pack_b32_f16 v4, v4, v10
	v_lshlrev_b32_e32 v8, 1, v11
	v_cvt_f16_f32_e32 v9, v75
	v_cvt_f16_f32_e32 v10, v74
	;; [unrolled: 1-line block ×3, first 2 shown]
	s_clause 0x2
	buffer_store_b64 v[0:1], v6, s[4:7], 0 offen
	buffer_store_b64 v[2:3], v12, s[4:7], 0 offen
	;; [unrolled: 1-line block ×3, first 2 shown]
	v_add_nc_u32_e32 v4, s12, v7
	v_cvt_f16_f32_e32 v2, v68
	v_cvt_f16_f32_e32 v3, v65
	;; [unrolled: 1-line block ×4, first 2 shown]
	v_pack_b32_f16 v1, v10, v13
	v_pack_b32_f16 v0, v9, v14
	v_add_lshl_u32 v6, v11, s12, 1
	v_cvt_f16_f32_e32 v8, v85
	v_cvt_f16_f32_e32 v9, v86
	;; [unrolled: 1-line block ×4, first 2 shown]
	v_lshl_add_u32 v12, s12, 6, v4
	v_pack_b32_f16 v3, v2, v3
	v_pack_b32_f16 v2, v5, v7
	v_lshlrev_b32_e32 v7, 1, v4
	v_pack_b32_f16 v5, v9, v10
	v_pack_b32_f16 v4, v8, v11
	v_lshlrev_b32_e32 v8, 1, v12
	s_clause 0x1
	buffer_store_b64 v[0:1], v6, s[4:7], 0 offen
	buffer_store_b64 v[2:3], v7, s[4:7], 0 offen
	v_add_nc_u32_e32 v2, 64, v12
	v_cvt_f16_f32_e32 v0, v78
	v_cvt_f16_f32_e32 v1, v81
	buffer_store_b64 v[4:5], v8, s[4:7], 0 offen
	v_cvt_f16_f32_e32 v3, v76
	v_cvt_f16_f32_e32 v4, v77
	;; [unrolled: 1-line block ×6, first 2 shown]
	v_subrev_nc_u32_e32 v9, s12, v2
	v_pack_b32_f16 v1, v0, v1
	v_pack_b32_f16 v0, v3, v4
	v_lshlrev_b32_e32 v4, 1, v2
	v_pack_b32_f16 v3, v6, v7
	v_pack_b32_f16 v2, v5, v8
	v_lshlrev_b32_e32 v5, 1, v9
	s_clause 0x1
	buffer_store_b64 v[0:1], v4, s[4:7], 0 offen
	buffer_store_b64 v[2:3], v5, s[4:7], 0 offen
	v_subrev_nc_u32_e32 v2, 64, v9
	v_cvt_f16_f32_e32 v6, v61
	v_cvt_f16_f32_e32 v10, v60
	;; [unrolled: 1-line block ×4, first 2 shown]
	v_subrev_nc_u32_e32 v5, s12, v2
	v_cvt_f16_f32_e32 v3, v58
	v_cvt_f16_f32_e32 v4, v59
	v_pack_b32_f16 v0, v6, v10
	v_lshlrev_b32_e32 v10, 1, v2
	v_cvt_f16_f32_e32 v2, v56
	v_cvt_f16_f32_e32 v6, v57
	v_add_nc_u32_e32 v11, 64, v5
	v_pack_b32_f16 v1, v7, v8
	v_pack_b32_f16 v3, v3, v4
	v_cvt_f16_f32_e32 v4, v53
	v_cvt_f16_f32_e32 v7, v54
	;; [unrolled: 1-line block ×4, first 2 shown]
	v_pack_b32_f16 v2, v2, v6
	v_subrev_nc_u32_e32 v6, s12, v11
	v_lshlrev_b32_e32 v12, 1, v5
	v_pack_b32_f16 v5, v7, v8
	v_pack_b32_f16 v4, v4, v9
	v_lshlrev_b32_e32 v13, 1, v11
	v_cvt_f16_f32_e32 v8, v48
	v_cvt_f16_f32_e32 v9, v49
	v_cvt_f16_f32_e32 v7, v50
	v_cvt_f16_f32_e32 v11, v51
	v_cvt_f16_f32_e32 v14, v44
	v_cvt_f16_f32_e32 v15, v46
	v_cvt_f16_f32_e32 v16, v47
	v_cvt_f16_f32_e32 v17, v45
	v_lshlrev_b32_e32 v18, 1, v6
	v_pack_b32_f16 v7, v7, v11
	v_pack_b32_f16 v6, v8, v9
	;; [unrolled: 1-line block ×4, first 2 shown]
	v_add_nc_u32_e32 v11, 0xffffff80, v18
	s_clause 0x4
	buffer_store_b64 v[0:1], v10, s[4:7], 0 offen
	buffer_store_b64 v[2:3], v12, s[4:7], 0 offen
	buffer_store_b64 v[4:5], v13, s[4:7], 0 offen
	buffer_store_b64 v[6:7], v18, s[4:7], 0 offen
	buffer_store_b64 v[8:9], v11, s[4:7], 0 offen
	s_nop 0
	s_sendmsg sendmsg(MSG_DEALLOC_VGPRS)
	s_endpgm
	.section	.rodata,"a",@progbits
	.p2align	6, 0x0
	.amdhsa_kernel _ZN2ck19kernel_gemm_dl_v1r3INS_28GridwiseGemmDl_km_kn_mn_v1r3ILi256EDF16_fDF16_LNS_25InMemoryDataOperationEnumE0ENS_16TensorDescriptorINS_5TupleIJNS_5EmbedINS4_IJiiEEENS4_IJNS_17integral_constantIiLi1EEEiEEELb0EEENS_7UnMergeINS4_IJiNS7_IiLi2EEEEEELb0EEENS_11PassThroughIiEEEEENS4_IJNS_8SequenceIJLi0EEEENSI_IJLi2EEEENSI_IJLi1EEEEEEENS4_IJNSI_IJLi1ELi2EEEENSI_IJLi3ELi4EEEENSI_IJLi5EEEEEEENSI_IJLi3ELi5ELi4EEEElEENS3_INS4_IJNS5_IS6_NS4_IJiS8_EEELb0EEESE_SG_EEENS4_IJSJ_SL_SK_EEESQ_SR_lEENS3_INS4_IJSU_SG_SG_EEESW_NS4_IJSN_NSI_IJLi3EEEENSI_IJLi4EEEEEEESO_lEELi128ELi128ELi16ELi2ELi4ELi4ELi1ENSI_IJLi8ELi2EEEES13_NSI_IJLi2ELi1ELi4ELi2EEEENSI_IJLi8ELi1ELi32ELi1EEEENSI_IJLi0ELi3ELi1ELi2EEEES16_NSI_IJLi1ELi1ELi4ELi1EEEES16_NSI_IJLi1ELi1ELi4ELi2EEEES14_S15_S16_S16_S17_S16_S18_NSI_IJLi0ELi1ELi2ELi3ELi4ELi5EEEELi5ELi4EEEDF16_DF16_NS3_INS4_IJSA_SE_SG_SG_NSB_INS4_IJiNS7_IiLi128EEEEEELb0EEENSF_ISC_EEEEENS4_IJSJ_SK_SL_SZ_SP_S10_EEENS4_IJSN_SO_SP_NSI_IJLi6EEEENSI_IJLi7ELi8EEEENSI_IJLi9EEEEEEENSI_IJLi6ELi7ELi8ELi9EEEElEENS3_INS4_IJSU_SE_SG_SG_S1D_S1E_EEENS4_IJSJ_SL_SK_SZ_SP_S10_EEES1K_S1L_lEENS3_INS4_IJSU_SG_SG_NSB_INS4_IJiSC_NS7_IiLi64EEEEEELb0EEES1S_EEENS4_IJSJ_SL_SK_SZ_S10_EEENS4_IJSN_SZ_S10_NSI_IJLi5ELi6ELi7EEEENSI_IJLi8ELi9ELi10EEEEEEENSI_IJLi5ELi6ELi7ELi8ELi9ELi10EEEElEENS_31BlockToCTileMap_M00_N00_M01_N01ILi128ELi128ES12_Lb0EEELb1ELb1EEEvPKT0_S24_PT1_T2_T3_T4_T5_
		.amdhsa_group_segment_fixed_size 32768
		.amdhsa_private_segment_fixed_size 0
		.amdhsa_kernarg_size 328
		.amdhsa_user_sgpr_count 15
		.amdhsa_user_sgpr_dispatch_ptr 0
		.amdhsa_user_sgpr_queue_ptr 0
		.amdhsa_user_sgpr_kernarg_segment_ptr 1
		.amdhsa_user_sgpr_dispatch_id 0
		.amdhsa_user_sgpr_private_segment_size 0
		.amdhsa_wavefront_size32 1
		.amdhsa_uses_dynamic_stack 0
		.amdhsa_enable_private_segment 0
		.amdhsa_system_sgpr_workgroup_id_x 1
		.amdhsa_system_sgpr_workgroup_id_y 0
		.amdhsa_system_sgpr_workgroup_id_z 0
		.amdhsa_system_sgpr_workgroup_info 0
		.amdhsa_system_vgpr_workitem_id 0
		.amdhsa_next_free_vgpr 193
		.amdhsa_next_free_sgpr 41
		.amdhsa_reserve_vcc 0
		.amdhsa_float_round_mode_32 0
		.amdhsa_float_round_mode_16_64 0
		.amdhsa_float_denorm_mode_32 3
		.amdhsa_float_denorm_mode_16_64 3
		.amdhsa_dx10_clamp 1
		.amdhsa_ieee_mode 1
		.amdhsa_fp16_overflow 0
		.amdhsa_workgroup_processor_mode 1
		.amdhsa_memory_ordered 1
		.amdhsa_forward_progress 0
		.amdhsa_shared_vgpr_count 0
		.amdhsa_exception_fp_ieee_invalid_op 0
		.amdhsa_exception_fp_denorm_src 0
		.amdhsa_exception_fp_ieee_div_zero 0
		.amdhsa_exception_fp_ieee_overflow 0
		.amdhsa_exception_fp_ieee_underflow 0
		.amdhsa_exception_fp_ieee_inexact 0
		.amdhsa_exception_int_div_zero 0
	.end_amdhsa_kernel
	.section	.text._ZN2ck19kernel_gemm_dl_v1r3INS_28GridwiseGemmDl_km_kn_mn_v1r3ILi256EDF16_fDF16_LNS_25InMemoryDataOperationEnumE0ENS_16TensorDescriptorINS_5TupleIJNS_5EmbedINS4_IJiiEEENS4_IJNS_17integral_constantIiLi1EEEiEEELb0EEENS_7UnMergeINS4_IJiNS7_IiLi2EEEEEELb0EEENS_11PassThroughIiEEEEENS4_IJNS_8SequenceIJLi0EEEENSI_IJLi2EEEENSI_IJLi1EEEEEEENS4_IJNSI_IJLi1ELi2EEEENSI_IJLi3ELi4EEEENSI_IJLi5EEEEEEENSI_IJLi3ELi5ELi4EEEElEENS3_INS4_IJNS5_IS6_NS4_IJiS8_EEELb0EEESE_SG_EEENS4_IJSJ_SL_SK_EEESQ_SR_lEENS3_INS4_IJSU_SG_SG_EEESW_NS4_IJSN_NSI_IJLi3EEEENSI_IJLi4EEEEEEESO_lEELi128ELi128ELi16ELi2ELi4ELi4ELi1ENSI_IJLi8ELi2EEEES13_NSI_IJLi2ELi1ELi4ELi2EEEENSI_IJLi8ELi1ELi32ELi1EEEENSI_IJLi0ELi3ELi1ELi2EEEES16_NSI_IJLi1ELi1ELi4ELi1EEEES16_NSI_IJLi1ELi1ELi4ELi2EEEES14_S15_S16_S16_S17_S16_S18_NSI_IJLi0ELi1ELi2ELi3ELi4ELi5EEEELi5ELi4EEEDF16_DF16_NS3_INS4_IJSA_SE_SG_SG_NSB_INS4_IJiNS7_IiLi128EEEEEELb0EEENSF_ISC_EEEEENS4_IJSJ_SK_SL_SZ_SP_S10_EEENS4_IJSN_SO_SP_NSI_IJLi6EEEENSI_IJLi7ELi8EEEENSI_IJLi9EEEEEEENSI_IJLi6ELi7ELi8ELi9EEEElEENS3_INS4_IJSU_SE_SG_SG_S1D_S1E_EEENS4_IJSJ_SL_SK_SZ_SP_S10_EEES1K_S1L_lEENS3_INS4_IJSU_SG_SG_NSB_INS4_IJiSC_NS7_IiLi64EEEEEELb0EEES1S_EEENS4_IJSJ_SL_SK_SZ_S10_EEENS4_IJSN_SZ_S10_NSI_IJLi5ELi6ELi7EEEENSI_IJLi8ELi9ELi10EEEEEEENSI_IJLi5ELi6ELi7ELi8ELi9ELi10EEEElEENS_31BlockToCTileMap_M00_N00_M01_N01ILi128ELi128ES12_Lb0EEELb1ELb1EEEvPKT0_S24_PT1_T2_T3_T4_T5_,"axG",@progbits,_ZN2ck19kernel_gemm_dl_v1r3INS_28GridwiseGemmDl_km_kn_mn_v1r3ILi256EDF16_fDF16_LNS_25InMemoryDataOperationEnumE0ENS_16TensorDescriptorINS_5TupleIJNS_5EmbedINS4_IJiiEEENS4_IJNS_17integral_constantIiLi1EEEiEEELb0EEENS_7UnMergeINS4_IJiNS7_IiLi2EEEEEELb0EEENS_11PassThroughIiEEEEENS4_IJNS_8SequenceIJLi0EEEENSI_IJLi2EEEENSI_IJLi1EEEEEEENS4_IJNSI_IJLi1ELi2EEEENSI_IJLi3ELi4EEEENSI_IJLi5EEEEEEENSI_IJLi3ELi5ELi4EEEElEENS3_INS4_IJNS5_IS6_NS4_IJiS8_EEELb0EEESE_SG_EEENS4_IJSJ_SL_SK_EEESQ_SR_lEENS3_INS4_IJSU_SG_SG_EEESW_NS4_IJSN_NSI_IJLi3EEEENSI_IJLi4EEEEEEESO_lEELi128ELi128ELi16ELi2ELi4ELi4ELi1ENSI_IJLi8ELi2EEEES13_NSI_IJLi2ELi1ELi4ELi2EEEENSI_IJLi8ELi1ELi32ELi1EEEENSI_IJLi0ELi3ELi1ELi2EEEES16_NSI_IJLi1ELi1ELi4ELi1EEEES16_NSI_IJLi1ELi1ELi4ELi2EEEES14_S15_S16_S16_S17_S16_S18_NSI_IJLi0ELi1ELi2ELi3ELi4ELi5EEEELi5ELi4EEEDF16_DF16_NS3_INS4_IJSA_SE_SG_SG_NSB_INS4_IJiNS7_IiLi128EEEEEELb0EEENSF_ISC_EEEEENS4_IJSJ_SK_SL_SZ_SP_S10_EEENS4_IJSN_SO_SP_NSI_IJLi6EEEENSI_IJLi7ELi8EEEENSI_IJLi9EEEEEEENSI_IJLi6ELi7ELi8ELi9EEEElEENS3_INS4_IJSU_SE_SG_SG_S1D_S1E_EEENS4_IJSJ_SL_SK_SZ_SP_S10_EEES1K_S1L_lEENS3_INS4_IJSU_SG_SG_NSB_INS4_IJiSC_NS7_IiLi64EEEEEELb0EEES1S_EEENS4_IJSJ_SL_SK_SZ_S10_EEENS4_IJSN_SZ_S10_NSI_IJLi5ELi6ELi7EEEENSI_IJLi8ELi9ELi10EEEEEEENSI_IJLi5ELi6ELi7ELi8ELi9ELi10EEEElEENS_31BlockToCTileMap_M00_N00_M01_N01ILi128ELi128ES12_Lb0EEELb1ELb1EEEvPKT0_S24_PT1_T2_T3_T4_T5_,comdat
.Lfunc_end1:
	.size	_ZN2ck19kernel_gemm_dl_v1r3INS_28GridwiseGemmDl_km_kn_mn_v1r3ILi256EDF16_fDF16_LNS_25InMemoryDataOperationEnumE0ENS_16TensorDescriptorINS_5TupleIJNS_5EmbedINS4_IJiiEEENS4_IJNS_17integral_constantIiLi1EEEiEEELb0EEENS_7UnMergeINS4_IJiNS7_IiLi2EEEEEELb0EEENS_11PassThroughIiEEEEENS4_IJNS_8SequenceIJLi0EEEENSI_IJLi2EEEENSI_IJLi1EEEEEEENS4_IJNSI_IJLi1ELi2EEEENSI_IJLi3ELi4EEEENSI_IJLi5EEEEEEENSI_IJLi3ELi5ELi4EEEElEENS3_INS4_IJNS5_IS6_NS4_IJiS8_EEELb0EEESE_SG_EEENS4_IJSJ_SL_SK_EEESQ_SR_lEENS3_INS4_IJSU_SG_SG_EEESW_NS4_IJSN_NSI_IJLi3EEEENSI_IJLi4EEEEEEESO_lEELi128ELi128ELi16ELi2ELi4ELi4ELi1ENSI_IJLi8ELi2EEEES13_NSI_IJLi2ELi1ELi4ELi2EEEENSI_IJLi8ELi1ELi32ELi1EEEENSI_IJLi0ELi3ELi1ELi2EEEES16_NSI_IJLi1ELi1ELi4ELi1EEEES16_NSI_IJLi1ELi1ELi4ELi2EEEES14_S15_S16_S16_S17_S16_S18_NSI_IJLi0ELi1ELi2ELi3ELi4ELi5EEEELi5ELi4EEEDF16_DF16_NS3_INS4_IJSA_SE_SG_SG_NSB_INS4_IJiNS7_IiLi128EEEEEELb0EEENSF_ISC_EEEEENS4_IJSJ_SK_SL_SZ_SP_S10_EEENS4_IJSN_SO_SP_NSI_IJLi6EEEENSI_IJLi7ELi8EEEENSI_IJLi9EEEEEEENSI_IJLi6ELi7ELi8ELi9EEEElEENS3_INS4_IJSU_SE_SG_SG_S1D_S1E_EEENS4_IJSJ_SL_SK_SZ_SP_S10_EEES1K_S1L_lEENS3_INS4_IJSU_SG_SG_NSB_INS4_IJiSC_NS7_IiLi64EEEEEELb0EEES1S_EEENS4_IJSJ_SL_SK_SZ_S10_EEENS4_IJSN_SZ_S10_NSI_IJLi5ELi6ELi7EEEENSI_IJLi8ELi9ELi10EEEEEEENSI_IJLi5ELi6ELi7ELi8ELi9ELi10EEEElEENS_31BlockToCTileMap_M00_N00_M01_N01ILi128ELi128ES12_Lb0EEELb1ELb1EEEvPKT0_S24_PT1_T2_T3_T4_T5_, .Lfunc_end1-_ZN2ck19kernel_gemm_dl_v1r3INS_28GridwiseGemmDl_km_kn_mn_v1r3ILi256EDF16_fDF16_LNS_25InMemoryDataOperationEnumE0ENS_16TensorDescriptorINS_5TupleIJNS_5EmbedINS4_IJiiEEENS4_IJNS_17integral_constantIiLi1EEEiEEELb0EEENS_7UnMergeINS4_IJiNS7_IiLi2EEEEEELb0EEENS_11PassThroughIiEEEEENS4_IJNS_8SequenceIJLi0EEEENSI_IJLi2EEEENSI_IJLi1EEEEEEENS4_IJNSI_IJLi1ELi2EEEENSI_IJLi3ELi4EEEENSI_IJLi5EEEEEEENSI_IJLi3ELi5ELi4EEEElEENS3_INS4_IJNS5_IS6_NS4_IJiS8_EEELb0EEESE_SG_EEENS4_IJSJ_SL_SK_EEESQ_SR_lEENS3_INS4_IJSU_SG_SG_EEESW_NS4_IJSN_NSI_IJLi3EEEENSI_IJLi4EEEEEEESO_lEELi128ELi128ELi16ELi2ELi4ELi4ELi1ENSI_IJLi8ELi2EEEES13_NSI_IJLi2ELi1ELi4ELi2EEEENSI_IJLi8ELi1ELi32ELi1EEEENSI_IJLi0ELi3ELi1ELi2EEEES16_NSI_IJLi1ELi1ELi4ELi1EEEES16_NSI_IJLi1ELi1ELi4ELi2EEEES14_S15_S16_S16_S17_S16_S18_NSI_IJLi0ELi1ELi2ELi3ELi4ELi5EEEELi5ELi4EEEDF16_DF16_NS3_INS4_IJSA_SE_SG_SG_NSB_INS4_IJiNS7_IiLi128EEEEEELb0EEENSF_ISC_EEEEENS4_IJSJ_SK_SL_SZ_SP_S10_EEENS4_IJSN_SO_SP_NSI_IJLi6EEEENSI_IJLi7ELi8EEEENSI_IJLi9EEEEEEENSI_IJLi6ELi7ELi8ELi9EEEElEENS3_INS4_IJSU_SE_SG_SG_S1D_S1E_EEENS4_IJSJ_SL_SK_SZ_SP_S10_EEES1K_S1L_lEENS3_INS4_IJSU_SG_SG_NSB_INS4_IJiSC_NS7_IiLi64EEEEEELb0EEES1S_EEENS4_IJSJ_SL_SK_SZ_S10_EEENS4_IJSN_SZ_S10_NSI_IJLi5ELi6ELi7EEEENSI_IJLi8ELi9ELi10EEEEEEENSI_IJLi5ELi6ELi7ELi8ELi9ELi10EEEElEENS_31BlockToCTileMap_M00_N00_M01_N01ILi128ELi128ES12_Lb0EEELb1ELb1EEEvPKT0_S24_PT1_T2_T3_T4_T5_
                                        ; -- End function
	.section	.AMDGPU.csdata,"",@progbits
; Kernel info:
; codeLenInByte = 22372
; NumSgprs: 41
; NumVgprs: 193
; ScratchSize: 0
; MemoryBound: 0
; FloatMode: 240
; IeeeMode: 1
; LDSByteSize: 32768 bytes/workgroup (compile time only)
; SGPRBlocks: 5
; VGPRBlocks: 24
; NumSGPRsForWavesPerEU: 41
; NumVGPRsForWavesPerEU: 193
; Occupancy: 7
; WaveLimiterHint : 0
; COMPUTE_PGM_RSRC2:SCRATCH_EN: 0
; COMPUTE_PGM_RSRC2:USER_SGPR: 15
; COMPUTE_PGM_RSRC2:TRAP_HANDLER: 0
; COMPUTE_PGM_RSRC2:TGID_X_EN: 1
; COMPUTE_PGM_RSRC2:TGID_Y_EN: 0
; COMPUTE_PGM_RSRC2:TGID_Z_EN: 0
; COMPUTE_PGM_RSRC2:TIDIG_COMP_CNT: 0
	.section	.text._ZN2ck19kernel_gemm_dl_v1r3INS_28GridwiseGemmDl_km_kn_mn_v1r3ILi256EDF16_fDF16_LNS_25InMemoryDataOperationEnumE0ENS_16TensorDescriptorINS_5TupleIJNS_5EmbedINS4_IJiiEEENS4_IJNS_17integral_constantIiLi1EEEiEEELb0EEENS_7UnMergeINS4_IJiNS7_IiLi2EEEEEELb0EEENS_11PassThroughIiEEEEENS4_IJNS_8SequenceIJLi0EEEENSI_IJLi2EEEENSI_IJLi1EEEEEEENS4_IJNSI_IJLi1ELi2EEEENSI_IJLi3ELi4EEEENSI_IJLi5EEEEEEENSI_IJLi3ELi5ELi4EEEElEENS3_INS4_IJNS5_IS6_NS4_IJiS8_EEELb0EEESE_SG_EEENS4_IJSJ_SL_SK_EEESQ_SR_lEENS3_INS4_IJSU_SG_SG_EEESW_NS4_IJSN_NSI_IJLi3EEEENSI_IJLi4EEEEEEESO_lEELi128ELi128ELi16ELi2ELi4ELi4ELi1ENSI_IJLi8ELi2EEEES13_NSI_IJLi2ELi1ELi4ELi2EEEENSI_IJLi8ELi1ELi32ELi1EEEENSI_IJLi0ELi3ELi1ELi2EEEES16_NSI_IJLi1ELi1ELi4ELi1EEEES16_NSI_IJLi1ELi1ELi4ELi2EEEES14_S15_S16_S16_S17_S16_S18_NSI_IJLi0ELi1ELi2ELi3ELi4ELi5EEEELi5ELi4EEEDF16_DF16_NS3_INS4_IJSA_SE_SG_SG_NSB_INS4_IJiNS7_IiLi128EEEEEELb0EEENSF_ISC_EEEEENS4_IJSJ_SK_SL_SZ_SP_S10_EEENS4_IJSN_SO_SP_NSI_IJLi6EEEENSI_IJLi7ELi8EEEENSI_IJLi9EEEEEEENSI_IJLi6ELi7ELi8ELi9EEEElEENS3_INS4_IJSU_SE_SG_SG_S1D_S1E_EEENS4_IJSJ_SL_SK_SZ_SP_S10_EEES1K_S1L_lEENS3_INS4_IJSU_SG_SG_NSB_INS4_IJiSC_NS7_IiLi64EEEEEELb0EEES1S_EEENS4_IJSJ_SL_SK_SZ_S10_EEENS4_IJSN_SZ_S10_NSI_IJLi5ELi6ELi7EEEENSI_IJLi8ELi9ELi10EEEEEEENSI_IJLi5ELi6ELi7ELi8ELi9ELi10EEEElEENS_31BlockToCTileMap_M00_N00_M01_N01ILi128ELi128ES12_Lb0EEELb1ELb0EEEvPKT0_S24_PT1_T2_T3_T4_T5_,"axG",@progbits,_ZN2ck19kernel_gemm_dl_v1r3INS_28GridwiseGemmDl_km_kn_mn_v1r3ILi256EDF16_fDF16_LNS_25InMemoryDataOperationEnumE0ENS_16TensorDescriptorINS_5TupleIJNS_5EmbedINS4_IJiiEEENS4_IJNS_17integral_constantIiLi1EEEiEEELb0EEENS_7UnMergeINS4_IJiNS7_IiLi2EEEEEELb0EEENS_11PassThroughIiEEEEENS4_IJNS_8SequenceIJLi0EEEENSI_IJLi2EEEENSI_IJLi1EEEEEEENS4_IJNSI_IJLi1ELi2EEEENSI_IJLi3ELi4EEEENSI_IJLi5EEEEEEENSI_IJLi3ELi5ELi4EEEElEENS3_INS4_IJNS5_IS6_NS4_IJiS8_EEELb0EEESE_SG_EEENS4_IJSJ_SL_SK_EEESQ_SR_lEENS3_INS4_IJSU_SG_SG_EEESW_NS4_IJSN_NSI_IJLi3EEEENSI_IJLi4EEEEEEESO_lEELi128ELi128ELi16ELi2ELi4ELi4ELi1ENSI_IJLi8ELi2EEEES13_NSI_IJLi2ELi1ELi4ELi2EEEENSI_IJLi8ELi1ELi32ELi1EEEENSI_IJLi0ELi3ELi1ELi2EEEES16_NSI_IJLi1ELi1ELi4ELi1EEEES16_NSI_IJLi1ELi1ELi4ELi2EEEES14_S15_S16_S16_S17_S16_S18_NSI_IJLi0ELi1ELi2ELi3ELi4ELi5EEEELi5ELi4EEEDF16_DF16_NS3_INS4_IJSA_SE_SG_SG_NSB_INS4_IJiNS7_IiLi128EEEEEELb0EEENSF_ISC_EEEEENS4_IJSJ_SK_SL_SZ_SP_S10_EEENS4_IJSN_SO_SP_NSI_IJLi6EEEENSI_IJLi7ELi8EEEENSI_IJLi9EEEEEEENSI_IJLi6ELi7ELi8ELi9EEEElEENS3_INS4_IJSU_SE_SG_SG_S1D_S1E_EEENS4_IJSJ_SL_SK_SZ_SP_S10_EEES1K_S1L_lEENS3_INS4_IJSU_SG_SG_NSB_INS4_IJiSC_NS7_IiLi64EEEEEELb0EEES1S_EEENS4_IJSJ_SL_SK_SZ_S10_EEENS4_IJSN_SZ_S10_NSI_IJLi5ELi6ELi7EEEENSI_IJLi8ELi9ELi10EEEEEEENSI_IJLi5ELi6ELi7ELi8ELi9ELi10EEEElEENS_31BlockToCTileMap_M00_N00_M01_N01ILi128ELi128ES12_Lb0EEELb1ELb0EEEvPKT0_S24_PT1_T2_T3_T4_T5_,comdat
	.protected	_ZN2ck19kernel_gemm_dl_v1r3INS_28GridwiseGemmDl_km_kn_mn_v1r3ILi256EDF16_fDF16_LNS_25InMemoryDataOperationEnumE0ENS_16TensorDescriptorINS_5TupleIJNS_5EmbedINS4_IJiiEEENS4_IJNS_17integral_constantIiLi1EEEiEEELb0EEENS_7UnMergeINS4_IJiNS7_IiLi2EEEEEELb0EEENS_11PassThroughIiEEEEENS4_IJNS_8SequenceIJLi0EEEENSI_IJLi2EEEENSI_IJLi1EEEEEEENS4_IJNSI_IJLi1ELi2EEEENSI_IJLi3ELi4EEEENSI_IJLi5EEEEEEENSI_IJLi3ELi5ELi4EEEElEENS3_INS4_IJNS5_IS6_NS4_IJiS8_EEELb0EEESE_SG_EEENS4_IJSJ_SL_SK_EEESQ_SR_lEENS3_INS4_IJSU_SG_SG_EEESW_NS4_IJSN_NSI_IJLi3EEEENSI_IJLi4EEEEEEESO_lEELi128ELi128ELi16ELi2ELi4ELi4ELi1ENSI_IJLi8ELi2EEEES13_NSI_IJLi2ELi1ELi4ELi2EEEENSI_IJLi8ELi1ELi32ELi1EEEENSI_IJLi0ELi3ELi1ELi2EEEES16_NSI_IJLi1ELi1ELi4ELi1EEEES16_NSI_IJLi1ELi1ELi4ELi2EEEES14_S15_S16_S16_S17_S16_S18_NSI_IJLi0ELi1ELi2ELi3ELi4ELi5EEEELi5ELi4EEEDF16_DF16_NS3_INS4_IJSA_SE_SG_SG_NSB_INS4_IJiNS7_IiLi128EEEEEELb0EEENSF_ISC_EEEEENS4_IJSJ_SK_SL_SZ_SP_S10_EEENS4_IJSN_SO_SP_NSI_IJLi6EEEENSI_IJLi7ELi8EEEENSI_IJLi9EEEEEEENSI_IJLi6ELi7ELi8ELi9EEEElEENS3_INS4_IJSU_SE_SG_SG_S1D_S1E_EEENS4_IJSJ_SL_SK_SZ_SP_S10_EEES1K_S1L_lEENS3_INS4_IJSU_SG_SG_NSB_INS4_IJiSC_NS7_IiLi64EEEEEELb0EEES1S_EEENS4_IJSJ_SL_SK_SZ_S10_EEENS4_IJSN_SZ_S10_NSI_IJLi5ELi6ELi7EEEENSI_IJLi8ELi9ELi10EEEEEEENSI_IJLi5ELi6ELi7ELi8ELi9ELi10EEEElEENS_31BlockToCTileMap_M00_N00_M01_N01ILi128ELi128ES12_Lb0EEELb1ELb0EEEvPKT0_S24_PT1_T2_T3_T4_T5_ ; -- Begin function _ZN2ck19kernel_gemm_dl_v1r3INS_28GridwiseGemmDl_km_kn_mn_v1r3ILi256EDF16_fDF16_LNS_25InMemoryDataOperationEnumE0ENS_16TensorDescriptorINS_5TupleIJNS_5EmbedINS4_IJiiEEENS4_IJNS_17integral_constantIiLi1EEEiEEELb0EEENS_7UnMergeINS4_IJiNS7_IiLi2EEEEEELb0EEENS_11PassThroughIiEEEEENS4_IJNS_8SequenceIJLi0EEEENSI_IJLi2EEEENSI_IJLi1EEEEEEENS4_IJNSI_IJLi1ELi2EEEENSI_IJLi3ELi4EEEENSI_IJLi5EEEEEEENSI_IJLi3ELi5ELi4EEEElEENS3_INS4_IJNS5_IS6_NS4_IJiS8_EEELb0EEESE_SG_EEENS4_IJSJ_SL_SK_EEESQ_SR_lEENS3_INS4_IJSU_SG_SG_EEESW_NS4_IJSN_NSI_IJLi3EEEENSI_IJLi4EEEEEEESO_lEELi128ELi128ELi16ELi2ELi4ELi4ELi1ENSI_IJLi8ELi2EEEES13_NSI_IJLi2ELi1ELi4ELi2EEEENSI_IJLi8ELi1ELi32ELi1EEEENSI_IJLi0ELi3ELi1ELi2EEEES16_NSI_IJLi1ELi1ELi4ELi1EEEES16_NSI_IJLi1ELi1ELi4ELi2EEEES14_S15_S16_S16_S17_S16_S18_NSI_IJLi0ELi1ELi2ELi3ELi4ELi5EEEELi5ELi4EEEDF16_DF16_NS3_INS4_IJSA_SE_SG_SG_NSB_INS4_IJiNS7_IiLi128EEEEEELb0EEENSF_ISC_EEEEENS4_IJSJ_SK_SL_SZ_SP_S10_EEENS4_IJSN_SO_SP_NSI_IJLi6EEEENSI_IJLi7ELi8EEEENSI_IJLi9EEEEEEENSI_IJLi6ELi7ELi8ELi9EEEElEENS3_INS4_IJSU_SE_SG_SG_S1D_S1E_EEENS4_IJSJ_SL_SK_SZ_SP_S10_EEES1K_S1L_lEENS3_INS4_IJSU_SG_SG_NSB_INS4_IJiSC_NS7_IiLi64EEEEEELb0EEES1S_EEENS4_IJSJ_SL_SK_SZ_S10_EEENS4_IJSN_SZ_S10_NSI_IJLi5ELi6ELi7EEEENSI_IJLi8ELi9ELi10EEEEEEENSI_IJLi5ELi6ELi7ELi8ELi9ELi10EEEElEENS_31BlockToCTileMap_M00_N00_M01_N01ILi128ELi128ES12_Lb0EEELb1ELb0EEEvPKT0_S24_PT1_T2_T3_T4_T5_
	.globl	_ZN2ck19kernel_gemm_dl_v1r3INS_28GridwiseGemmDl_km_kn_mn_v1r3ILi256EDF16_fDF16_LNS_25InMemoryDataOperationEnumE0ENS_16TensorDescriptorINS_5TupleIJNS_5EmbedINS4_IJiiEEENS4_IJNS_17integral_constantIiLi1EEEiEEELb0EEENS_7UnMergeINS4_IJiNS7_IiLi2EEEEEELb0EEENS_11PassThroughIiEEEEENS4_IJNS_8SequenceIJLi0EEEENSI_IJLi2EEEENSI_IJLi1EEEEEEENS4_IJNSI_IJLi1ELi2EEEENSI_IJLi3ELi4EEEENSI_IJLi5EEEEEEENSI_IJLi3ELi5ELi4EEEElEENS3_INS4_IJNS5_IS6_NS4_IJiS8_EEELb0EEESE_SG_EEENS4_IJSJ_SL_SK_EEESQ_SR_lEENS3_INS4_IJSU_SG_SG_EEESW_NS4_IJSN_NSI_IJLi3EEEENSI_IJLi4EEEEEEESO_lEELi128ELi128ELi16ELi2ELi4ELi4ELi1ENSI_IJLi8ELi2EEEES13_NSI_IJLi2ELi1ELi4ELi2EEEENSI_IJLi8ELi1ELi32ELi1EEEENSI_IJLi0ELi3ELi1ELi2EEEES16_NSI_IJLi1ELi1ELi4ELi1EEEES16_NSI_IJLi1ELi1ELi4ELi2EEEES14_S15_S16_S16_S17_S16_S18_NSI_IJLi0ELi1ELi2ELi3ELi4ELi5EEEELi5ELi4EEEDF16_DF16_NS3_INS4_IJSA_SE_SG_SG_NSB_INS4_IJiNS7_IiLi128EEEEEELb0EEENSF_ISC_EEEEENS4_IJSJ_SK_SL_SZ_SP_S10_EEENS4_IJSN_SO_SP_NSI_IJLi6EEEENSI_IJLi7ELi8EEEENSI_IJLi9EEEEEEENSI_IJLi6ELi7ELi8ELi9EEEElEENS3_INS4_IJSU_SE_SG_SG_S1D_S1E_EEENS4_IJSJ_SL_SK_SZ_SP_S10_EEES1K_S1L_lEENS3_INS4_IJSU_SG_SG_NSB_INS4_IJiSC_NS7_IiLi64EEEEEELb0EEES1S_EEENS4_IJSJ_SL_SK_SZ_S10_EEENS4_IJSN_SZ_S10_NSI_IJLi5ELi6ELi7EEEENSI_IJLi8ELi9ELi10EEEEEEENSI_IJLi5ELi6ELi7ELi8ELi9ELi10EEEElEENS_31BlockToCTileMap_M00_N00_M01_N01ILi128ELi128ES12_Lb0EEELb1ELb0EEEvPKT0_S24_PT1_T2_T3_T4_T5_
	.p2align	8
	.type	_ZN2ck19kernel_gemm_dl_v1r3INS_28GridwiseGemmDl_km_kn_mn_v1r3ILi256EDF16_fDF16_LNS_25InMemoryDataOperationEnumE0ENS_16TensorDescriptorINS_5TupleIJNS_5EmbedINS4_IJiiEEENS4_IJNS_17integral_constantIiLi1EEEiEEELb0EEENS_7UnMergeINS4_IJiNS7_IiLi2EEEEEELb0EEENS_11PassThroughIiEEEEENS4_IJNS_8SequenceIJLi0EEEENSI_IJLi2EEEENSI_IJLi1EEEEEEENS4_IJNSI_IJLi1ELi2EEEENSI_IJLi3ELi4EEEENSI_IJLi5EEEEEEENSI_IJLi3ELi5ELi4EEEElEENS3_INS4_IJNS5_IS6_NS4_IJiS8_EEELb0EEESE_SG_EEENS4_IJSJ_SL_SK_EEESQ_SR_lEENS3_INS4_IJSU_SG_SG_EEESW_NS4_IJSN_NSI_IJLi3EEEENSI_IJLi4EEEEEEESO_lEELi128ELi128ELi16ELi2ELi4ELi4ELi1ENSI_IJLi8ELi2EEEES13_NSI_IJLi2ELi1ELi4ELi2EEEENSI_IJLi8ELi1ELi32ELi1EEEENSI_IJLi0ELi3ELi1ELi2EEEES16_NSI_IJLi1ELi1ELi4ELi1EEEES16_NSI_IJLi1ELi1ELi4ELi2EEEES14_S15_S16_S16_S17_S16_S18_NSI_IJLi0ELi1ELi2ELi3ELi4ELi5EEEELi5ELi4EEEDF16_DF16_NS3_INS4_IJSA_SE_SG_SG_NSB_INS4_IJiNS7_IiLi128EEEEEELb0EEENSF_ISC_EEEEENS4_IJSJ_SK_SL_SZ_SP_S10_EEENS4_IJSN_SO_SP_NSI_IJLi6EEEENSI_IJLi7ELi8EEEENSI_IJLi9EEEEEEENSI_IJLi6ELi7ELi8ELi9EEEElEENS3_INS4_IJSU_SE_SG_SG_S1D_S1E_EEENS4_IJSJ_SL_SK_SZ_SP_S10_EEES1K_S1L_lEENS3_INS4_IJSU_SG_SG_NSB_INS4_IJiSC_NS7_IiLi64EEEEEELb0EEES1S_EEENS4_IJSJ_SL_SK_SZ_S10_EEENS4_IJSN_SZ_S10_NSI_IJLi5ELi6ELi7EEEENSI_IJLi8ELi9ELi10EEEEEEENSI_IJLi5ELi6ELi7ELi8ELi9ELi10EEEElEENS_31BlockToCTileMap_M00_N00_M01_N01ILi128ELi128ES12_Lb0EEELb1ELb0EEEvPKT0_S24_PT1_T2_T3_T4_T5_,@function
_ZN2ck19kernel_gemm_dl_v1r3INS_28GridwiseGemmDl_km_kn_mn_v1r3ILi256EDF16_fDF16_LNS_25InMemoryDataOperationEnumE0ENS_16TensorDescriptorINS_5TupleIJNS_5EmbedINS4_IJiiEEENS4_IJNS_17integral_constantIiLi1EEEiEEELb0EEENS_7UnMergeINS4_IJiNS7_IiLi2EEEEEELb0EEENS_11PassThroughIiEEEEENS4_IJNS_8SequenceIJLi0EEEENSI_IJLi2EEEENSI_IJLi1EEEEEEENS4_IJNSI_IJLi1ELi2EEEENSI_IJLi3ELi4EEEENSI_IJLi5EEEEEEENSI_IJLi3ELi5ELi4EEEElEENS3_INS4_IJNS5_IS6_NS4_IJiS8_EEELb0EEESE_SG_EEENS4_IJSJ_SL_SK_EEESQ_SR_lEENS3_INS4_IJSU_SG_SG_EEESW_NS4_IJSN_NSI_IJLi3EEEENSI_IJLi4EEEEEEESO_lEELi128ELi128ELi16ELi2ELi4ELi4ELi1ENSI_IJLi8ELi2EEEES13_NSI_IJLi2ELi1ELi4ELi2EEEENSI_IJLi8ELi1ELi32ELi1EEEENSI_IJLi0ELi3ELi1ELi2EEEES16_NSI_IJLi1ELi1ELi4ELi1EEEES16_NSI_IJLi1ELi1ELi4ELi2EEEES14_S15_S16_S16_S17_S16_S18_NSI_IJLi0ELi1ELi2ELi3ELi4ELi5EEEELi5ELi4EEEDF16_DF16_NS3_INS4_IJSA_SE_SG_SG_NSB_INS4_IJiNS7_IiLi128EEEEEELb0EEENSF_ISC_EEEEENS4_IJSJ_SK_SL_SZ_SP_S10_EEENS4_IJSN_SO_SP_NSI_IJLi6EEEENSI_IJLi7ELi8EEEENSI_IJLi9EEEEEEENSI_IJLi6ELi7ELi8ELi9EEEElEENS3_INS4_IJSU_SE_SG_SG_S1D_S1E_EEENS4_IJSJ_SL_SK_SZ_SP_S10_EEES1K_S1L_lEENS3_INS4_IJSU_SG_SG_NSB_INS4_IJiSC_NS7_IiLi64EEEEEELb0EEES1S_EEENS4_IJSJ_SL_SK_SZ_S10_EEENS4_IJSN_SZ_S10_NSI_IJLi5ELi6ELi7EEEENSI_IJLi8ELi9ELi10EEEEEEENSI_IJLi5ELi6ELi7ELi8ELi9ELi10EEEElEENS_31BlockToCTileMap_M00_N00_M01_N01ILi128ELi128ES12_Lb0EEELb1ELb0EEEvPKT0_S24_PT1_T2_T3_T4_T5_: ; @_ZN2ck19kernel_gemm_dl_v1r3INS_28GridwiseGemmDl_km_kn_mn_v1r3ILi256EDF16_fDF16_LNS_25InMemoryDataOperationEnumE0ENS_16TensorDescriptorINS_5TupleIJNS_5EmbedINS4_IJiiEEENS4_IJNS_17integral_constantIiLi1EEEiEEELb0EEENS_7UnMergeINS4_IJiNS7_IiLi2EEEEEELb0EEENS_11PassThroughIiEEEEENS4_IJNS_8SequenceIJLi0EEEENSI_IJLi2EEEENSI_IJLi1EEEEEEENS4_IJNSI_IJLi1ELi2EEEENSI_IJLi3ELi4EEEENSI_IJLi5EEEEEEENSI_IJLi3ELi5ELi4EEEElEENS3_INS4_IJNS5_IS6_NS4_IJiS8_EEELb0EEESE_SG_EEENS4_IJSJ_SL_SK_EEESQ_SR_lEENS3_INS4_IJSU_SG_SG_EEESW_NS4_IJSN_NSI_IJLi3EEEENSI_IJLi4EEEEEEESO_lEELi128ELi128ELi16ELi2ELi4ELi4ELi1ENSI_IJLi8ELi2EEEES13_NSI_IJLi2ELi1ELi4ELi2EEEENSI_IJLi8ELi1ELi32ELi1EEEENSI_IJLi0ELi3ELi1ELi2EEEES16_NSI_IJLi1ELi1ELi4ELi1EEEES16_NSI_IJLi1ELi1ELi4ELi2EEEES14_S15_S16_S16_S17_S16_S18_NSI_IJLi0ELi1ELi2ELi3ELi4ELi5EEEELi5ELi4EEEDF16_DF16_NS3_INS4_IJSA_SE_SG_SG_NSB_INS4_IJiNS7_IiLi128EEEEEELb0EEENSF_ISC_EEEEENS4_IJSJ_SK_SL_SZ_SP_S10_EEENS4_IJSN_SO_SP_NSI_IJLi6EEEENSI_IJLi7ELi8EEEENSI_IJLi9EEEEEEENSI_IJLi6ELi7ELi8ELi9EEEElEENS3_INS4_IJSU_SE_SG_SG_S1D_S1E_EEENS4_IJSJ_SL_SK_SZ_SP_S10_EEES1K_S1L_lEENS3_INS4_IJSU_SG_SG_NSB_INS4_IJiSC_NS7_IiLi64EEEEEELb0EEES1S_EEENS4_IJSJ_SL_SK_SZ_S10_EEENS4_IJSN_SZ_S10_NSI_IJLi5ELi6ELi7EEEENSI_IJLi8ELi9ELi10EEEEEEENSI_IJLi5ELi6ELi7ELi8ELi9ELi10EEEElEENS_31BlockToCTileMap_M00_N00_M01_N01ILi128ELi128ES12_Lb0EEELb1ELb0EEEvPKT0_S24_PT1_T2_T3_T4_T5_
; %bb.0:
	s_clause 0xd
	s_load_b128 s[8:11], s[0:1], 0x11c
	s_load_b128 s[16:19], s[0:1], 0x130
	s_load_b32 s28, s[0:1], 0x24
	s_load_b32 s30, s[0:1], 0x38
	;; [unrolled: 1-line block ×4, first 2 shown]
	s_load_b128 s[24:27], s[0:1], 0x108
	s_load_b128 s[20:23], s[0:1], 0x0
	s_load_b64 s[4:5], s[0:1], 0x10
	s_load_b32 s29, s[0:1], 0x60
	s_load_b32 s14, s[0:1], 0x90
	;; [unrolled: 1-line block ×3, first 2 shown]
	s_load_b64 s[6:7], s[0:1], 0xd0
	s_load_b32 s0, s[0:1], 0xec
	v_lshrrev_b32_e32 v1, 4, v0
	v_dual_mov_b32 v45, 0 :: v_dual_lshlrev_b32 v6, 2, v0
	v_dual_mov_b32 v16, 0 :: v_dual_mov_b32 v47, 0
	s_delay_alu instid0(VALU_DEP_3) | instskip(NEXT) | instid1(VALU_DEP_3)
	v_and_b32_e32 v7, 14, v1
	v_and_b32_e32 v8, 0x7c, v6
	v_mov_b32_e32 v44, 0
	s_mov_b32 s3, 0x31004000
	s_delay_alu instid0(VALU_DEP_3)
	v_dual_mov_b32 v42, 0 :: v_dual_lshlrev_b32 v5, 1, v7
	v_mov_b32_e32 v49, 0
	v_dual_mov_b32 v53, 0 :: v_dual_mov_b32 v38, 0
	v_mov_b32_e32 v63, 0
	s_waitcnt lgkmcnt(0)
	s_lshl_b32 s2, s2, 1
	s_mul_hi_u32 s1, s11, s15
	s_mov_b32 s11, s3
	s_add_i32 s1, s15, s1
	v_dual_mov_b32 v54, 0 :: v_dual_mov_b32 v69, 0
	s_lshr_b32 s1, s1, s19
	v_dual_mov_b32 v52, 0 :: v_dual_mov_b32 v71, 0
	s_mul_hi_u32 s7, s1, s10
	s_mul_i32 s10, s1, s27
	s_add_i32 s7, s1, s7
	v_dual_mov_b32 v56, 0 :: v_dual_mov_b32 v65, 0
	s_lshr_b32 s7, s7, s18
	s_sub_i32 s18, s15, s10
	s_mul_hi_u32 s9, s7, s9
	s_mul_i32 s10, s7, s26
	s_add_i32 s9, s7, s9
	s_sub_i32 s1, s1, s10
	s_lshr_b32 s9, s9, s17
	s_lshl_b32 s15, s28, 1
	s_mul_i32 s10, s9, s25
	s_mul_hi_u32 s8, s9, s8
	s_sub_i32 s7, s7, s10
	s_add_i32 s8, s9, s8
	s_mul_i32 s7, s7, s13
	s_lshr_b32 s8, s8, s16
	s_add_i32 s18, s18, s7
	s_mul_i32 s8, s8, s24
	s_lshl_b32 s7, s18, 7
	s_sub_i32 s8, s9, s8
	v_or_b32_e32 v1, s7, v8
	s_mul_i32 s8, s8, s0
	s_lshl_b32 s10, s14, 1
	s_add_i32 s25, s1, s8
	s_lshl_b32 s14, s29, 1
	v_mad_u64_u32 v[2:3], null, s29, v5, v[1:2]
	s_lshl_b32 s13, s25, 7
	s_mov_b32 s8, s22
	v_or_b32_e32 v1, s13, v8
	v_mov_b32_e32 v46, 0
	s_mov_b32 s9, s23
	v_mov_b32_e32 v37, 0
	s_delay_alu instid0(VALU_DEP_4)
	v_add_lshl_u32 v9, s14, v2, 1
	v_mad_u64_u32 v[3:4], null, s28, v5, v[1:2]
	v_add_nc_u32_e32 v1, s29, v2
	v_dual_mov_b32 v51, 0 :: v_dual_lshlrev_b32 v4, 1, v2
	v_mov_b32_e32 v40, 0
	s_mov_b32 s0, s20
	s_delay_alu instid0(VALU_DEP_3) | instskip(SKIP_4) | instid1(VALU_DEP_4)
	v_lshlrev_b32_e32 v5, 1, v1
	v_add_nc_u32_e32 v10, s28, v3
	v_add_lshl_u32 v1, v1, s14, 1
	v_dual_mov_b32 v36, 0 :: v_dual_lshlrev_b32 v11, 1, v3
	v_add_lshl_u32 v14, s15, v3, 1
	v_dual_mov_b32 v61, 0 :: v_dual_lshlrev_b32 v12, 1, v10
	s_clause 0x3
	buffer_load_b64 v[2:3], v4, s[8:11], 0 offen
	buffer_load_b64 v[4:5], v5, s[8:11], 0 offen
	;; [unrolled: 1-line block ×4, first 2 shown]
	v_add_lshl_u32 v1, v10, s15, 1
	s_mov_b32 s1, s21
	s_clause 0x3
	buffer_load_b64 v[10:11], v11, s[0:3], 0 offen
	buffer_load_b64 v[12:13], v12, s[0:3], 0 offen
	;; [unrolled: 1-line block ×4, first 2 shown]
	v_lshrrev_b32_e32 v1, 5, v0
	v_lshlrev_b32_e32 v9, 1, v0
	v_dual_mov_b32 v59, 0 :: v_dual_mov_b32 v48, 0
	v_mov_b32_e32 v50, 0
	s_delay_alu instid0(VALU_DEP_4) | instskip(NEXT) | instid1(VALU_DEP_4)
	v_lshlrev_b32_e32 v14, 6, v1
	v_and_b32_e32 v15, 0x1f8, v9
	v_and_b32_e32 v9, 0x1fc, v9
	v_lshlrev_b32_e32 v8, 2, v8
	v_and_b32_e32 v0, 31, v0
	v_dual_mov_b32 v60, 0 :: v_dual_mov_b32 v67, 0
	v_sub_nc_u32_e32 v14, v15, v14
	v_sub_nc_u32_e32 v9, v9, v15
	v_lshl_or_b32 v84, v7, 9, v8
	v_dual_mov_b32 v62, 0 :: v_dual_mov_b32 v73, 0
	s_delay_alu instid0(VALU_DEP_4) | instskip(NEXT) | instid1(VALU_DEP_4)
	v_and_or_b32 v80, v6, 4, v14
	v_lshl_add_u32 v81, v1, 3, v9
	v_mul_lo_u32 v6, s29, v1
	v_mul_lo_u32 v1, s28, v1
	v_dual_mov_b32 v68, 0 :: v_dual_mov_b32 v75, 0
	v_dual_mov_b32 v70, 0 :: v_dual_mov_b32 v77, 0
	;; [unrolled: 1-line block ×18, first 2 shown]
	v_or_b32_e32 v85, 0x4000, v84
	v_lshlrev_b32_e32 v82, 2, v81
	v_lshlrev_b32_e32 v83, 2, v80
	v_or_b32_e32 v86, 0x2000, v84
	v_or_b32_e32 v87, 0x6000, v84
	v_add_lshl_u32 v88, v6, v0, 3
	v_add_lshl_u32 v89, v1, v0, 3
	s_sub_i32 s15, s30, 32
	s_mul_i32 s19, s29, 0x84
	s_lshl_b32 s16, s29, 7
	s_mul_i32 s20, s29, 0x86
	s_mul_i32 s21, s29, 0x82
	;; [unrolled: 1-line block ×5, first 2 shown]
	s_lshl_b32 s26, s29, 6
	s_mul_i32 s27, s28, 0x84
	s_lshl_b32 s17, s28, 7
	s_mul_i32 s29, s28, 0x86
	s_mul_i32 s30, s28, 0x82
	;; [unrolled: 1-line block ×5, first 2 shown]
	s_lshl_b32 s35, s28, 6
	s_lshl_b32 s28, s18, 8
	;; [unrolled: 1-line block ×3, first 2 shown]
	s_mov_b32 s14, 0
	s_add_i32 s18, s28, s19
	s_add_i32 s19, s28, s20
	;; [unrolled: 1-line block ×16, first 2 shown]
	s_waitcnt vmcnt(6)
	v_perm_b32 v1, v4, v2, 0x7060302
	v_perm_b32 v0, v4, v2, 0x5040100
	;; [unrolled: 1-line block ×3, first 2 shown]
	s_waitcnt vmcnt(2)
	v_perm_b32 v9, v12, v10, 0x7060302
	v_perm_b32 v8, v12, v10, 0x5040100
	;; [unrolled: 1-line block ×4, first 2 shown]
	s_waitcnt vmcnt(0)
	v_perm_b32 v15, v95, v97, 0x7060302
	v_perm_b32 v13, v94, v96, 0x7060302
	;; [unrolled: 1-line block ×9, first 2 shown]
	ds_store_b128 v84, v[8:11]
	ds_store_b128 v84, v[12:15] offset:512
	ds_store_b128 v84, v[0:3] offset:16384
	ds_store_b128 v84, v[4:7] offset:16896
.LBB2_1:                                ; =>This Inner Loop Header: Depth=1
	v_add_nc_u32_e32 v0, s34, v89
	v_add_nc_u32_e32 v1, s33, v89
	;; [unrolled: 1-line block ×8, first 2 shown]
	s_clause 0x3
	buffer_load_b64 v[12:13], v0, s[0:3], 0 offen
	buffer_load_b64 v[14:15], v1, s[0:3], 0 offen
	;; [unrolled: 1-line block ×4, first 2 shown]
	s_clause 0x3
	buffer_load_b64 v[4:5], v4, s[8:11], 0 offen
	buffer_load_b64 v[6:7], v6, s[8:11], 0 offen
	;; [unrolled: 1-line block ×4, first 2 shown]
	s_waitcnt vmcnt(0) lgkmcnt(0)
	s_barrier
	ds_load_b128 v[100:103], v83 offset:16384
	ds_load_b128 v[104:107], v82
	ds_load_b128 v[108:111], v83 offset:16640
	ds_load_b128 v[112:115], v82 offset:256
	;; [unrolled: 1-line block ×19, first 2 shown]
	s_waitcnt lgkmcnt(19)
	v_dual_dot2acc_f32_f16 v66, v105, v102 :: v_dual_add_nc_u32 v95, s29, v89
	v_dot2acc_f32_f16 v64, v105, v103
	v_dual_dot2acc_f32_f16 v61, v106, v103 :: v_dual_add_nc_u32 v92, s28, v89
	v_dual_dot2acc_f32_f16 v62, v106, v100 :: v_dual_add_nc_u32 v93, s27, v89
	v_dual_dot2acc_f32_f16 v37, v107, v103 :: v_dual_add_nc_u32 v94, s26, v89
	s_waitcnt lgkmcnt(18)
	v_dual_dot2acc_f32_f16 v73, v104, v110 :: v_dual_add_nc_u32 v96, s21, v88
	v_dual_dot2acc_f32_f16 v60, v106, v101 :: v_dual_add_nc_u32 v97, s20, v88
	v_dual_dot2acc_f32_f16 v69, v105, v109 :: v_dual_add_nc_u32 v98, s19, v88
	v_dual_dot2acc_f32_f16 v36, v107, v101 :: v_dual_add_nc_u32 v99, s18, v88
	v_dot2acc_f32_f16 v79, v104, v100
	v_dot2acc_f32_f16 v77, v104, v101
	;; [unrolled: 1-line block ×3, first 2 shown]
	v_dual_dot2acc_f32_f16 v76, v104, v103 :: v_dual_dot2acc_f32_f16 v67, v105, v100
	v_dot2acc_f32_f16 v65, v105, v101
	v_dual_dot2acc_f32_f16 v63, v106, v102 :: v_dual_dot2acc_f32_f16 v38, v107, v100
	v_dual_dot2acc_f32_f16 v51, v106, v111 :: v_dual_dot2acc_f32_f16 v40, v107, v102
	v_dot2acc_f32_f16 v75, v104, v108
	v_dual_dot2acc_f32_f16 v74, v104, v109 :: v_dual_dot2acc_f32_f16 v71, v105, v108
	v_dual_dot2acc_f32_f16 v72, v104, v111 :: v_dual_dot2acc_f32_f16 v47, v107, v108
	;; [unrolled: 1-line block ×3, first 2 shown]
	s_waitcnt lgkmcnt(17)
	v_dual_dot2acc_f32_f16 v68, v105, v111 :: v_dual_dot2acc_f32_f16 v17, v112, v101
	v_dual_dot2acc_f32_f16 v56, v106, v108 :: v_dual_dot2acc_f32_f16 v19, v112, v103
	;; [unrolled: 1-line block ×18, first 2 shown]
	s_waitcnt lgkmcnt(14)
	v_dual_dot2acc_f32_f16 v48, v115, v108 :: v_dual_dot2acc_f32_f16 v77, v124, v117
	v_dual_dot2acc_f32_f16 v50, v115, v110 :: v_dual_dot2acc_f32_f16 v79, v124, v116
	ds_load_b128 v[104:107], v83 offset:19200
	ds_load_b128 v[100:103], v82 offset:2560
	v_dual_dot2acc_f32_f16 v78, v124, v118 :: v_dual_dot2acc_f32_f16 v67, v125, v116
	v_dual_dot2acc_f32_f16 v76, v124, v119 :: v_dual_dot2acc_f32_f16 v65, v125, v117
	v_dual_dot2acc_f32_f16 v66, v125, v118 :: v_dual_dot2acc_f32_f16 v61, v126, v119
	v_dual_dot2acc_f32_f16 v64, v125, v119 :: v_dual_dot2acc_f32_f16 v63, v126, v118
	v_dual_dot2acc_f32_f16 v62, v126, v116 :: v_dual_dot2acc_f32_f16 v37, v127, v119
	v_dual_dot2acc_f32_f16 v60, v126, v117 :: v_dual_dot2acc_f32_f16 v75, v124, v120
	v_dual_dot2acc_f32_f16 v38, v127, v116 :: v_dual_dot2acc_f32_f16 v73, v124, v122
	v_dual_dot2acc_f32_f16 v36, v127, v117 :: v_dual_dot2acc_f32_f16 v71, v125, v120
	v_dual_dot2acc_f32_f16 v40, v127, v118 :: v_dual_dot2acc_f32_f16 v69, v125, v121
	v_dual_dot2acc_f32_f16 v74, v124, v121 :: v_dual_dot2acc_f32_f16 v51, v126, v123
	v_dual_dot2acc_f32_f16 v72, v124, v123 :: v_dual_dot2acc_f32_f16 v47, v127, v120
	v_dual_dot2acc_f32_f16 v70, v125, v122 :: v_dual_dot2acc_f32_f16 v45, v127, v121
	s_waitcnt lgkmcnt(15)
	v_dual_dot2acc_f32_f16 v68, v125, v123 :: v_dual_dot2acc_f32_f16 v17, v128, v117
	v_dual_dot2acc_f32_f16 v56, v126, v120 :: v_dual_dot2acc_f32_f16 v19, v128, v119
	v_dual_dot2acc_f32_f16 v52, v126, v121 :: v_dual_dot2acc_f32_f16 v31, v129, v119
	v_dual_dot2acc_f32_f16 v54, v126, v122 :: v_dual_dot2acc_f32_f16 v29, v129, v117
	v_dual_dot2acc_f32_f16 v46, v127, v122 :: v_dual_dot2acc_f32_f16 v33, v130, v116
	v_dual_dot2acc_f32_f16 v44, v127, v123 :: v_dual_dot2acc_f32_f16 v21, v128, v121
	v_dual_dot2acc_f32_f16 v16, v128, v116 :: v_dual_dot2acc_f32_f16 v35, v130, v119
	v_dual_dot2acc_f32_f16 v18, v128, v118 :: v_dual_dot2acc_f32_f16 v57, v131, v116
	v_dual_dot2acc_f32_f16 v28, v129, v116 :: v_dual_dot2acc_f32_f16 v55, v131, v117
	v_dual_dot2acc_f32_f16 v30, v129, v118 :: v_dual_dot2acc_f32_f16 v59, v131, v119
	v_dual_dot2acc_f32_f16 v32, v130, v117 :: v_dual_dot2acc_f32_f16 v23, v128, v123
	v_dual_dot2acc_f32_f16 v34, v130, v118 :: v_dual_dot2acc_f32_f16 v25, v129, v120
	v_dual_dot2acc_f32_f16 v58, v131, v118 :: v_dual_dot2acc_f32_f16 v27, v129, v123
	v_dual_dot2acc_f32_f16 v20, v128, v120 :: v_dual_dot2acc_f32_f16 v39, v130, v121
	v_dual_dot2acc_f32_f16 v22, v128, v122 :: v_dual_dot2acc_f32_f16 v41, v130, v120
	v_dual_dot2acc_f32_f16 v24, v129, v121 :: v_dual_dot2acc_f32_f16 v43, v130, v123
	v_dual_dot2acc_f32_f16 v26, v129, v122 :: v_dual_dot2acc_f32_f16 v49, v131, v121
	v_dual_dot2acc_f32_f16 v42, v130, v122 :: v_dual_dot2acc_f32_f16 v53, v131, v123
	s_waitcnt lgkmcnt(12)
	v_dual_dot2acc_f32_f16 v48, v131, v120 :: v_dual_dot2acc_f32_f16 v77, v140, v133
	v_dual_dot2acc_f32_f16 v50, v131, v122 :: v_dual_dot2acc_f32_f16 v79, v140, v132
	ds_load_b128 v[108:111], v82 offset:2816
	ds_load_b128 v[112:115], v83 offset:19456
	ds_load_b128 v[124:127], v83 offset:19712
	ds_load_b128 v[116:119], v82 offset:3072
	v_dual_dot2acc_f32_f16 v78, v140, v134 :: v_dual_dot2acc_f32_f16 v67, v141, v132
	v_dual_dot2acc_f32_f16 v76, v140, v135 :: v_dual_dot2acc_f32_f16 v65, v141, v133
	v_dual_dot2acc_f32_f16 v66, v141, v134 :: v_dual_dot2acc_f32_f16 v61, v142, v135
	v_dual_dot2acc_f32_f16 v64, v141, v135 :: v_dual_dot2acc_f32_f16 v63, v142, v134
	v_dual_dot2acc_f32_f16 v62, v142, v132 :: v_dual_dot2acc_f32_f16 v37, v143, v135
	v_dual_dot2acc_f32_f16 v60, v142, v133 :: v_dual_dot2acc_f32_f16 v75, v140, v136
	v_dual_dot2acc_f32_f16 v38, v143, v132 :: v_dual_dot2acc_f32_f16 v73, v140, v138
	v_dual_dot2acc_f32_f16 v36, v143, v133 :: v_dual_dot2acc_f32_f16 v71, v141, v136
	v_dual_dot2acc_f32_f16 v40, v143, v134 :: v_dual_dot2acc_f32_f16 v69, v141, v137
	v_dual_dot2acc_f32_f16 v74, v140, v137 :: v_dual_dot2acc_f32_f16 v51, v142, v139
	v_dual_dot2acc_f32_f16 v72, v140, v139 :: v_dual_dot2acc_f32_f16 v47, v143, v136
	v_dual_dot2acc_f32_f16 v70, v141, v138 :: v_dual_dot2acc_f32_f16 v45, v143, v137
	s_waitcnt lgkmcnt(15)
	v_dual_dot2acc_f32_f16 v68, v141, v139 :: v_dual_dot2acc_f32_f16 v17, v144, v133
	v_dual_dot2acc_f32_f16 v56, v142, v136 :: v_dual_dot2acc_f32_f16 v19, v144, v135
	v_dual_dot2acc_f32_f16 v52, v142, v137 :: v_dual_dot2acc_f32_f16 v31, v145, v135
	v_dual_dot2acc_f32_f16 v54, v142, v138 :: v_dual_dot2acc_f32_f16 v29, v145, v133
	v_dual_dot2acc_f32_f16 v46, v143, v138 :: v_dual_dot2acc_f32_f16 v33, v146, v132
	v_dual_dot2acc_f32_f16 v44, v143, v139 :: v_dual_dot2acc_f32_f16 v21, v144, v137
	v_dual_dot2acc_f32_f16 v16, v144, v132 :: v_dual_dot2acc_f32_f16 v35, v146, v135
	v_dual_dot2acc_f32_f16 v18, v144, v134 :: v_dual_dot2acc_f32_f16 v57, v147, v132
	v_dual_dot2acc_f32_f16 v28, v145, v132 :: v_dual_dot2acc_f32_f16 v55, v147, v133
	v_dual_dot2acc_f32_f16 v30, v145, v134 :: v_dual_dot2acc_f32_f16 v59, v147, v135
	v_dual_dot2acc_f32_f16 v32, v146, v133 :: v_dual_dot2acc_f32_f16 v23, v144, v139
	v_dual_dot2acc_f32_f16 v34, v146, v134 :: v_dual_dot2acc_f32_f16 v25, v145, v136
	v_dual_dot2acc_f32_f16 v58, v147, v134 :: v_dual_dot2acc_f32_f16 v27, v145, v139
	v_dual_dot2acc_f32_f16 v20, v144, v136 :: v_dual_dot2acc_f32_f16 v39, v146, v137
	v_dual_dot2acc_f32_f16 v22, v144, v138 :: v_dual_dot2acc_f32_f16 v41, v146, v136
	v_dual_dot2acc_f32_f16 v24, v145, v137 :: v_dual_dot2acc_f32_f16 v43, v146, v139
	v_dual_dot2acc_f32_f16 v26, v145, v138 :: v_dual_dot2acc_f32_f16 v49, v147, v137
	v_dual_dot2acc_f32_f16 v42, v146, v138 :: v_dual_dot2acc_f32_f16 v53, v147, v139
	s_waitcnt lgkmcnt(12)
	v_dual_dot2acc_f32_f16 v48, v147, v136 :: v_dual_dot2acc_f32_f16 v77, v156, v149
	v_dual_dot2acc_f32_f16 v50, v147, v138 :: v_dual_dot2acc_f32_f16 v79, v156, v148
	ds_load_b128 v[120:123], v82 offset:3328
	ds_load_b128 v[128:131], v83 offset:19968
	;; [unrolled: 38-line block ×5, first 2 shown]
	v_dual_dot2acc_f32_f16 v78, v116, v114 :: v_dual_dot2acc_f32_f16 v67, v117, v112
	v_dual_dot2acc_f32_f16 v76, v116, v115 :: v_dual_dot2acc_f32_f16 v65, v117, v113
	;; [unrolled: 1-line block ×12, first 2 shown]
	s_waitcnt lgkmcnt(13)
	v_dual_dot2acc_f32_f16 v68, v117, v127 :: v_dual_dot2acc_f32_f16 v17, v120, v113
	v_dual_dot2acc_f32_f16 v56, v118, v124 :: v_dual_dot2acc_f32_f16 v19, v120, v115
	;; [unrolled: 1-line block ×18, first 2 shown]
	s_waitcnt lgkmcnt(10)
	v_dual_dot2acc_f32_f16 v48, v123, v124 :: v_dual_dot2acc_f32_f16 v77, v132, v129
	v_dual_dot2acc_f32_f16 v50, v123, v126 :: v_dual_dot2acc_f32_f16 v79, v132, v128
	ds_load_b128 v[100:103], v83 offset:21760
	ds_load_b128 v[180:183], v82 offset:5120
	;; [unrolled: 1-line block ×4, first 2 shown]
	v_dual_dot2acc_f32_f16 v78, v132, v130 :: v_dual_dot2acc_f32_f16 v67, v133, v128
	v_dual_dot2acc_f32_f16 v76, v132, v131 :: v_dual_dot2acc_f32_f16 v65, v133, v129
	;; [unrolled: 1-line block ×12, first 2 shown]
	s_waitcnt lgkmcnt(13)
	v_dual_dot2acc_f32_f16 v68, v133, v143 :: v_dual_dot2acc_f32_f16 v17, v136, v129
	v_dual_dot2acc_f32_f16 v56, v134, v140 :: v_dual_dot2acc_f32_f16 v19, v136, v131
	;; [unrolled: 1-line block ×18, first 2 shown]
	s_waitcnt lgkmcnt(10)
	v_dual_dot2acc_f32_f16 v48, v139, v140 :: v_dual_dot2acc_f32_f16 v77, v148, v145
	v_dual_dot2acc_f32_f16 v50, v139, v142 :: v_dual_dot2acc_f32_f16 v79, v148, v144
	;; [unrolled: 1-line block ×14, first 2 shown]
	s_waitcnt lgkmcnt(9)
	v_dual_dot2acc_f32_f16 v68, v149, v159 :: v_dual_dot2acc_f32_f16 v17, v152, v145
	v_dual_dot2acc_f32_f16 v56, v150, v156 :: v_dual_dot2acc_f32_f16 v19, v152, v147
	;; [unrolled: 1-line block ×18, first 2 shown]
	s_waitcnt lgkmcnt(6)
	v_dual_dot2acc_f32_f16 v48, v155, v156 :: v_dual_dot2acc_f32_f16 v77, v164, v161
	v_dual_dot2acc_f32_f16 v50, v155, v158 :: v_dual_dot2acc_f32_f16 v79, v164, v160
	ds_load_b128 v[116:119], v83 offset:22272
	ds_load_b128 v[112:115], v82 offset:5632
	;; [unrolled: 1-line block ×12, first 2 shown]
	v_dual_dot2acc_f32_f16 v78, v164, v162 :: v_dual_dot2acc_f32_f16 v67, v165, v160
	v_dual_dot2acc_f32_f16 v76, v164, v163 :: v_dual_dot2acc_f32_f16 v65, v165, v161
	;; [unrolled: 1-line block ×12, first 2 shown]
	s_waitcnt lgkmcnt(17)
	v_dual_dot2acc_f32_f16 v68, v165, v175 :: v_dual_dot2acc_f32_f16 v17, v168, v161
	v_dual_dot2acc_f32_f16 v56, v166, v172 :: v_dual_dot2acc_f32_f16 v19, v168, v163
	;; [unrolled: 1-line block ×6, first 2 shown]
	ds_load_b128 v[164:167], v83 offset:23808
	v_dual_dot2acc_f32_f16 v16, v168, v160 :: v_dual_dot2acc_f32_f16 v35, v170, v163
	v_dual_dot2acc_f32_f16 v18, v168, v162 :: v_dual_dot2acc_f32_f16 v57, v171, v160
	;; [unrolled: 1-line block ×7, first 2 shown]
	ds_load_b128 v[160:163], v82 offset:7168
	v_dual_dot2acc_f32_f16 v20, v168, v172 :: v_dual_dot2acc_f32_f16 v39, v170, v173
	v_dual_dot2acc_f32_f16 v22, v168, v174 :: v_dual_dot2acc_f32_f16 v41, v170, v172
	;; [unrolled: 1-line block ×5, first 2 shown]
	s_waitcnt lgkmcnt(16)
	v_dual_dot2acc_f32_f16 v48, v171, v172 :: v_dual_dot2acc_f32_f16 v77, v180, v177
	v_dual_dot2acc_f32_f16 v50, v171, v174 :: v_dual_dot2acc_f32_f16 v79, v180, v176
	ds_load_b128 v[168:171], v82 offset:7424
	ds_load_b128 v[172:175], v83 offset:24064
	buffer_load_b64 v[184:185], v95, s[0:3], 0 offen
	v_dual_dot2acc_f32_f16 v78, v180, v178 :: v_dual_dot2acc_f32_f16 v67, v181, v176
	v_dual_dot2acc_f32_f16 v76, v180, v179 :: v_dual_dot2acc_f32_f16 v65, v181, v177
	;; [unrolled: 1-line block ×12, first 2 shown]
	s_waitcnt lgkmcnt(17)
	v_dual_dot2acc_f32_f16 v68, v181, v103 :: v_dual_dot2acc_f32_f16 v17, v104, v177
	v_dual_dot2acc_f32_f16 v56, v182, v100 :: v_dual_dot2acc_f32_f16 v19, v104, v179
	;; [unrolled: 1-line block ×6, first 2 shown]
	ds_load_b128 v[180:183], v83 offset:24320
	v_dual_dot2acc_f32_f16 v16, v104, v176 :: v_dual_dot2acc_f32_f16 v35, v106, v179
	v_dual_dot2acc_f32_f16 v18, v104, v178 :: v_dual_dot2acc_f32_f16 v57, v107, v176
	;; [unrolled: 1-line block ×7, first 2 shown]
	ds_load_b128 v[176:179], v82 offset:7680
	v_dual_dot2acc_f32_f16 v20, v104, v100 :: v_dual_dot2acc_f32_f16 v39, v106, v101
	v_dual_dot2acc_f32_f16 v22, v104, v102 :: v_dual_dot2acc_f32_f16 v41, v106, v100
	;; [unrolled: 1-line block ×5, first 2 shown]
	s_waitcnt lgkmcnt(16)
	v_dual_dot2acc_f32_f16 v48, v107, v100 :: v_dual_dot2acc_f32_f16 v77, v112, v109
	v_dual_dot2acc_f32_f16 v50, v107, v102 :: v_dual_dot2acc_f32_f16 v79, v112, v108
	s_clause 0x2
	buffer_load_b64 v[106:107], v92, s[0:3], 0 offen
	buffer_load_b64 v[186:187], v93, s[0:3], 0 offen
	;; [unrolled: 1-line block ×3, first 2 shown]
	s_clause 0x3
	buffer_load_b64 v[190:191], v96, s[8:11], 0 offen
	buffer_load_b64 v[192:193], v97, s[8:11], 0 offen
	;; [unrolled: 1-line block ×4, first 2 shown]
	s_waitcnt lgkmcnt(15)
	v_dual_dot2acc_f32_f16 v68, v113, v119 :: v_dual_dot2acc_f32_f16 v17, v120, v109
	v_dual_dot2acc_f32_f16 v56, v114, v116 :: v_dual_dot2acc_f32_f16 v19, v120, v111
	;; [unrolled: 1-line block ×6, first 2 shown]
	ds_load_b128 v[90:93], v82 offset:7936
	v_dual_dot2acc_f32_f16 v16, v120, v108 :: v_dual_dot2acc_f32_f16 v35, v122, v111
	v_dual_dot2acc_f32_f16 v18, v120, v110 :: v_dual_dot2acc_f32_f16 v57, v123, v108
	v_dual_dot2acc_f32_f16 v28, v121, v108 :: v_dual_dot2acc_f32_f16 v55, v123, v109
	v_dual_dot2acc_f32_f16 v30, v121, v110 :: v_dual_dot2acc_f32_f16 v59, v123, v111
	v_dual_dot2acc_f32_f16 v32, v122, v109 :: v_dual_dot2acc_f32_f16 v23, v120, v119
	v_dual_dot2acc_f32_f16 v34, v122, v110 :: v_dual_dot2acc_f32_f16 v25, v121, v116
	v_dual_dot2acc_f32_f16 v58, v123, v110 :: v_dual_dot2acc_f32_f16 v27, v121, v119
	v_dual_dot2acc_f32_f16 v20, v120, v116 :: v_dual_dot2acc_f32_f16 v39, v122, v117
	v_dual_dot2acc_f32_f16 v22, v120, v118 :: v_dual_dot2acc_f32_f16 v41, v122, v116
	v_dual_dot2acc_f32_f16 v24, v121, v117 :: v_dual_dot2acc_f32_f16 v43, v122, v119
	v_dual_dot2acc_f32_f16 v26, v121, v118 :: v_dual_dot2acc_f32_f16 v49, v123, v117
	v_dual_dot2acc_f32_f16 v42, v122, v118 :: v_dual_dot2acc_f32_f16 v53, v123, v119
	s_waitcnt lgkmcnt(13)
	v_dual_dot2acc_f32_f16 v48, v123, v116 :: v_dual_dot2acc_f32_f16 v77, v128, v125
	v_dual_dot2acc_f32_f16 v50, v123, v118 :: v_dual_dot2acc_f32_f16 v79, v128, v124
	v_dual_dot2acc_f32_f16 v78, v112, v110 :: v_dual_dot2acc_f32_f16 v67, v113, v108
	v_dual_dot2acc_f32_f16 v76, v112, v111 :: v_dual_dot2acc_f32_f16 v65, v113, v109
	v_dual_dot2acc_f32_f16 v66, v113, v110 :: v_dual_dot2acc_f32_f16 v61, v114, v111
	v_dual_dot2acc_f32_f16 v64, v113, v111 :: v_dual_dot2acc_f32_f16 v63, v114, v110
	v_dual_dot2acc_f32_f16 v62, v114, v108 :: v_dual_dot2acc_f32_f16 v37, v115, v111
	v_dual_dot2acc_f32_f16 v60, v114, v109 :: v_dual_dot2acc_f32_f16 v75, v112, v116
	v_dual_dot2acc_f32_f16 v38, v115, v108 :: v_dual_dot2acc_f32_f16 v73, v112, v118
	v_dual_dot2acc_f32_f16 v36, v115, v109 :: v_dual_dot2acc_f32_f16 v71, v113, v116
	v_dual_dot2acc_f32_f16 v40, v115, v110 :: v_dual_dot2acc_f32_f16 v69, v113, v117
	v_dual_dot2acc_f32_f16 v74, v112, v117 :: v_dual_dot2acc_f32_f16 v51, v114, v119
	v_dual_dot2acc_f32_f16 v72, v112, v119 :: v_dual_dot2acc_f32_f16 v47, v115, v116
	v_dual_dot2acc_f32_f16 v70, v113, v118 :: v_dual_dot2acc_f32_f16 v45, v115, v117
	s_waitcnt lgkmcnt(12)
	v_dual_dot2acc_f32_f16 v68, v129, v135 :: v_dual_dot2acc_f32_f16 v17, v136, v125
	v_dual_dot2acc_f32_f16 v56, v130, v132 :: v_dual_dot2acc_f32_f16 v19, v136, v127
	v_dual_dot2acc_f32_f16 v52, v130, v133 :: v_dual_dot2acc_f32_f16 v31, v137, v127
	v_dual_dot2acc_f32_f16 v54, v130, v134 :: v_dual_dot2acc_f32_f16 v29, v137, v125
	v_dual_dot2acc_f32_f16 v46, v131, v134 :: v_dual_dot2acc_f32_f16 v33, v138, v124
	v_dual_dot2acc_f32_f16 v44, v131, v135 :: v_dual_dot2acc_f32_f16 v21, v136, v133
	v_dual_dot2acc_f32_f16 v16, v136, v124 :: v_dual_dot2acc_f32_f16 v35, v138, v127
	v_dual_dot2acc_f32_f16 v18, v136, v126 :: v_dual_dot2acc_f32_f16 v57, v139, v124
	v_dual_dot2acc_f32_f16 v28, v137, v124 :: v_dual_dot2acc_f32_f16 v55, v139, v125
	v_dual_dot2acc_f32_f16 v30, v137, v126 :: v_dual_dot2acc_f32_f16 v59, v139, v127
	v_dual_dot2acc_f32_f16 v32, v138, v125 :: v_dual_dot2acc_f32_f16 v23, v136, v135
	v_dual_dot2acc_f32_f16 v34, v138, v126 :: v_dual_dot2acc_f32_f16 v25, v137, v132
	v_dual_dot2acc_f32_f16 v58, v139, v126 :: v_dual_dot2acc_f32_f16 v27, v137, v135
	v_dual_dot2acc_f32_f16 v20, v136, v132 :: v_dual_dot2acc_f32_f16 v39, v138, v133
	v_dual_dot2acc_f32_f16 v22, v136, v134 :: v_dual_dot2acc_f32_f16 v41, v138, v132
	v_dual_dot2acc_f32_f16 v24, v137, v133 :: v_dual_dot2acc_f32_f16 v43, v138, v135
	v_dual_dot2acc_f32_f16 v26, v137, v134 :: v_dual_dot2acc_f32_f16 v49, v139, v133
	v_dual_dot2acc_f32_f16 v42, v138, v134 :: v_dual_dot2acc_f32_f16 v53, v139, v135
	s_waitcnt lgkmcnt(9)
	v_dual_dot2acc_f32_f16 v48, v139, v132 :: v_dual_dot2acc_f32_f16 v77, v144, v141
	v_dual_dot2acc_f32_f16 v50, v139, v134 :: v_dual_dot2acc_f32_f16 v79, v144, v140
	v_dual_dot2acc_f32_f16 v78, v128, v126 :: v_dual_dot2acc_f32_f16 v67, v129, v124
	v_dual_dot2acc_f32_f16 v76, v128, v127 :: v_dual_dot2acc_f32_f16 v65, v129, v125
	v_dual_dot2acc_f32_f16 v66, v129, v126 :: v_dual_dot2acc_f32_f16 v61, v130, v127
	v_dual_dot2acc_f32_f16 v64, v129, v127 :: v_dual_dot2acc_f32_f16 v63, v130, v126
	v_dual_dot2acc_f32_f16 v62, v130, v124 :: v_dual_dot2acc_f32_f16 v37, v131, v127
	v_dual_dot2acc_f32_f16 v60, v130, v125 :: v_dual_dot2acc_f32_f16 v75, v128, v132
	v_dual_dot2acc_f32_f16 v38, v131, v124 :: v_dual_dot2acc_f32_f16 v73, v128, v134
	v_dual_dot2acc_f32_f16 v36, v131, v125 :: v_dual_dot2acc_f32_f16 v71, v129, v132
	v_dual_dot2acc_f32_f16 v40, v131, v126 :: v_dual_dot2acc_f32_f16 v69, v129, v133
	v_dual_dot2acc_f32_f16 v74, v128, v133 :: v_dual_dot2acc_f32_f16 v51, v130, v135
	v_dual_dot2acc_f32_f16 v72, v128, v135 :: v_dual_dot2acc_f32_f16 v47, v131, v132
	v_dual_dot2acc_f32_f16 v70, v129, v134 :: v_dual_dot2acc_f32_f16 v45, v131, v133
	s_waitcnt lgkmcnt(8)
	v_dual_dot2acc_f32_f16 v68, v145, v151 :: v_dual_dot2acc_f32_f16 v17, v152, v141
	v_dual_dot2acc_f32_f16 v56, v146, v148 :: v_dual_dot2acc_f32_f16 v19, v152, v143
	v_dual_dot2acc_f32_f16 v52, v146, v149 :: v_dual_dot2acc_f32_f16 v31, v153, v143
	v_dual_dot2acc_f32_f16 v54, v146, v150 :: v_dual_dot2acc_f32_f16 v29, v153, v141
	v_dual_dot2acc_f32_f16 v46, v147, v150 :: v_dual_dot2acc_f32_f16 v33, v154, v140
	v_dual_dot2acc_f32_f16 v44, v147, v151 :: v_dual_dot2acc_f32_f16 v21, v152, v149
	;; [unrolled: 34-line block ×4, first 2 shown]
	v_dual_dot2acc_f32_f16 v16, v90, v172 :: v_dual_dot2acc_f32_f16 v35, v92, v175
	v_dual_dot2acc_f32_f16 v18, v90, v174 :: v_dual_dot2acc_f32_f16 v55, v93, v173
	v_dual_dot2acc_f32_f16 v28, v91, v172 :: v_dual_dot2acc_f32_f16 v59, v93, v175
	v_dual_dot2acc_f32_f16 v30, v91, v174 :: v_dual_dot2acc_f32_f16 v21, v90, v181
	v_dual_dot2acc_f32_f16 v32, v92, v173 :: v_dual_dot2acc_f32_f16 v23, v90, v183
	v_dual_dot2acc_f32_f16 v34, v92, v174 :: v_dual_dot2acc_f32_f16 v25, v91, v180
	v_dual_dot2acc_f32_f16 v58, v93, v174 :: v_dual_dot2acc_f32_f16 v27, v91, v183
	v_dual_dot2acc_f32_f16 v20, v90, v180 :: v_dual_dot2acc_f32_f16 v39, v92, v181
	v_dual_dot2acc_f32_f16 v22, v90, v182 :: v_dual_dot2acc_f32_f16 v41, v92, v180
	v_dual_dot2acc_f32_f16 v24, v91, v181 :: v_dual_dot2acc_f32_f16 v43, v92, v183
	v_dual_dot2acc_f32_f16 v26, v91, v182 :: v_dual_dot2acc_f32_f16 v49, v93, v181
	v_dual_dot2acc_f32_f16 v42, v92, v182 :: v_dual_dot2acc_f32_f16 v53, v93, v183
	v_dot2acc_f32_f16 v48, v93, v180
	v_dot2acc_f32_f16 v50, v93, v182
	v_perm_b32 v91, v14, v12, 0x7060302
	v_perm_b32 v90, v14, v12, 0x5040100
	;; [unrolled: 1-line block ×4, first 2 shown]
	v_dual_dot2acc_f32_f16 v78, v176, v174 :: v_dual_dot2acc_f32_f16 v67, v177, v172
	v_dual_dot2acc_f32_f16 v76, v176, v175 :: v_dual_dot2acc_f32_f16 v65, v177, v173
	;; [unrolled: 1-line block ×12, first 2 shown]
	v_perm_b32 v99, v6, v4, 0x7060302
	v_perm_b32 v98, v6, v4, 0x5040100
	v_perm_b32 v100, v7, v5, 0x5040100
	v_perm_b32 v101, v7, v5, 0x7060302
	v_perm_b32 v95, v8, v10, 0x7060302
	v_perm_b32 v94, v8, v10, 0x5040100
	v_perm_b32 v96, v9, v11, 0x5040100
	v_perm_b32 v97, v9, v11, 0x7060302
	v_perm_b32 v103, v0, v2, 0x7060302
	v_perm_b32 v102, v0, v2, 0x5040100
	v_perm_b32 v104, v1, v3, 0x5040100
	v_perm_b32 v105, v1, v3, 0x7060302
	s_waitcnt vmcnt(6)
	v_perm_b32 v1, v106, v184, 0x7060302
	v_perm_b32 v0, v106, v184, 0x5040100
	v_perm_b32 v2, v107, v185, 0x5040100
	v_perm_b32 v3, v107, v185, 0x7060302
	ds_store_b128 v84, v[90:93] offset:8192
	ds_store_b128 v84, v[98:101] offset:24576
	ds_store_b128 v86, v[94:97] offset:512
	ds_store_b128 v87, v[102:105] offset:512
	s_waitcnt vmcnt(0) lgkmcnt(0)
	s_barrier
	ds_load_b128 v[90:93], v83 offset:24576
	ds_load_b128 v[94:97], v83 offset:24832
	;; [unrolled: 1-line block ×23, first 2 shown]
	s_waitcnt lgkmcnt(20)
	v_dot2acc_f32_f16 v79, v98, v90
	v_dot2acc_f32_f16 v77, v98, v91
	v_dual_dot2acc_f32_f16 v78, v98, v92 :: v_dual_dot2acc_f32_f16 v67, v99, v90
	v_dual_dot2acc_f32_f16 v76, v98, v93 :: v_dual_dot2acc_f32_f16 v65, v99, v91
	;; [unrolled: 1-line block ×12, first 2 shown]
	s_waitcnt lgkmcnt(19)
	v_dual_dot2acc_f32_f16 v68, v99, v97 :: v_dual_dot2acc_f32_f16 v17, v102, v91
	v_dual_dot2acc_f32_f16 v56, v100, v94 :: v_dual_dot2acc_f32_f16 v19, v102, v93
	;; [unrolled: 1-line block ×18, first 2 shown]
	s_waitcnt lgkmcnt(16)
	v_dual_dot2acc_f32_f16 v48, v105, v94 :: v_dual_dot2acc_f32_f16 v77, v114, v107
	v_dual_dot2acc_f32_f16 v50, v105, v96 :: v_dual_dot2acc_f32_f16 v79, v114, v106
	ds_load_b128 v[98:101], v82 offset:11008
	ds_load_b128 v[90:93], v83 offset:27648
	v_dual_dot2acc_f32_f16 v78, v114, v108 :: v_dual_dot2acc_f32_f16 v67, v115, v106
	v_dual_dot2acc_f32_f16 v76, v114, v109 :: v_dual_dot2acc_f32_f16 v65, v115, v107
	v_dual_dot2acc_f32_f16 v66, v115, v108 :: v_dual_dot2acc_f32_f16 v61, v116, v109
	v_dual_dot2acc_f32_f16 v64, v115, v109 :: v_dual_dot2acc_f32_f16 v63, v116, v108
	v_dual_dot2acc_f32_f16 v62, v116, v106 :: v_dual_dot2acc_f32_f16 v37, v117, v109
	v_dual_dot2acc_f32_f16 v60, v116, v107 :: v_dual_dot2acc_f32_f16 v75, v114, v110
	v_dual_dot2acc_f32_f16 v38, v117, v106 :: v_dual_dot2acc_f32_f16 v73, v114, v112
	v_dual_dot2acc_f32_f16 v36, v117, v107 :: v_dual_dot2acc_f32_f16 v71, v115, v110
	v_dual_dot2acc_f32_f16 v40, v117, v108 :: v_dual_dot2acc_f32_f16 v69, v115, v111
	v_dual_dot2acc_f32_f16 v74, v114, v111 :: v_dual_dot2acc_f32_f16 v51, v116, v113
	v_dual_dot2acc_f32_f16 v72, v114, v113 :: v_dual_dot2acc_f32_f16 v47, v117, v110
	v_dual_dot2acc_f32_f16 v70, v115, v112 :: v_dual_dot2acc_f32_f16 v45, v117, v111
	s_waitcnt lgkmcnt(17)
	v_dual_dot2acc_f32_f16 v68, v115, v113 :: v_dual_dot2acc_f32_f16 v17, v118, v107
	v_dual_dot2acc_f32_f16 v56, v116, v110 :: v_dual_dot2acc_f32_f16 v19, v118, v109
	v_dual_dot2acc_f32_f16 v52, v116, v111 :: v_dual_dot2acc_f32_f16 v31, v119, v109
	v_dual_dot2acc_f32_f16 v54, v116, v112 :: v_dual_dot2acc_f32_f16 v29, v119, v107
	v_dual_dot2acc_f32_f16 v46, v117, v112 :: v_dual_dot2acc_f32_f16 v33, v120, v106
	v_dual_dot2acc_f32_f16 v44, v117, v113 :: v_dual_dot2acc_f32_f16 v21, v118, v111
	v_dual_dot2acc_f32_f16 v16, v118, v106 :: v_dual_dot2acc_f32_f16 v35, v120, v109
	v_dual_dot2acc_f32_f16 v18, v118, v108 :: v_dual_dot2acc_f32_f16 v57, v121, v106
	v_dual_dot2acc_f32_f16 v28, v119, v106 :: v_dual_dot2acc_f32_f16 v55, v121, v107
	v_dual_dot2acc_f32_f16 v30, v119, v108 :: v_dual_dot2acc_f32_f16 v59, v121, v109
	v_dual_dot2acc_f32_f16 v32, v120, v107 :: v_dual_dot2acc_f32_f16 v23, v118, v113
	v_dual_dot2acc_f32_f16 v34, v120, v108 :: v_dual_dot2acc_f32_f16 v25, v119, v110
	v_dual_dot2acc_f32_f16 v58, v121, v108 :: v_dual_dot2acc_f32_f16 v27, v119, v113
	v_dual_dot2acc_f32_f16 v20, v118, v110 :: v_dual_dot2acc_f32_f16 v39, v120, v111
	v_dual_dot2acc_f32_f16 v22, v118, v112 :: v_dual_dot2acc_f32_f16 v41, v120, v110
	v_dual_dot2acc_f32_f16 v24, v119, v111 :: v_dual_dot2acc_f32_f16 v43, v120, v113
	v_dual_dot2acc_f32_f16 v26, v119, v112 :: v_dual_dot2acc_f32_f16 v49, v121, v111
	v_dual_dot2acc_f32_f16 v42, v120, v112 :: v_dual_dot2acc_f32_f16 v53, v121, v113
	s_waitcnt lgkmcnt(14)
	v_dual_dot2acc_f32_f16 v48, v121, v110 :: v_dual_dot2acc_f32_f16 v77, v130, v123
	v_dual_dot2acc_f32_f16 v50, v121, v112 :: v_dual_dot2acc_f32_f16 v79, v130, v122
	ds_load_b128 v[94:97], v83 offset:27904
	ds_load_b128 v[102:105], v82 offset:11264
	ds_load_b128 v[114:117], v82 offset:11520
	ds_load_b128 v[106:109], v83 offset:28160
	v_dual_dot2acc_f32_f16 v78, v130, v124 :: v_dual_dot2acc_f32_f16 v67, v131, v122
	v_dual_dot2acc_f32_f16 v76, v130, v125 :: v_dual_dot2acc_f32_f16 v65, v131, v123
	v_dual_dot2acc_f32_f16 v66, v131, v124 :: v_dual_dot2acc_f32_f16 v61, v132, v125
	v_dual_dot2acc_f32_f16 v64, v131, v125 :: v_dual_dot2acc_f32_f16 v63, v132, v124
	v_dual_dot2acc_f32_f16 v62, v132, v122 :: v_dual_dot2acc_f32_f16 v37, v133, v125
	v_dual_dot2acc_f32_f16 v60, v132, v123 :: v_dual_dot2acc_f32_f16 v75, v130, v126
	v_dual_dot2acc_f32_f16 v38, v133, v122 :: v_dual_dot2acc_f32_f16 v73, v130, v128
	v_dual_dot2acc_f32_f16 v36, v133, v123 :: v_dual_dot2acc_f32_f16 v71, v131, v126
	v_dual_dot2acc_f32_f16 v40, v133, v124 :: v_dual_dot2acc_f32_f16 v69, v131, v127
	v_dual_dot2acc_f32_f16 v74, v130, v127 :: v_dual_dot2acc_f32_f16 v51, v132, v129
	v_dual_dot2acc_f32_f16 v72, v130, v129 :: v_dual_dot2acc_f32_f16 v47, v133, v126
	v_dual_dot2acc_f32_f16 v70, v131, v128 :: v_dual_dot2acc_f32_f16 v45, v133, v127
	s_waitcnt lgkmcnt(17)
	v_dual_dot2acc_f32_f16 v68, v131, v129 :: v_dual_dot2acc_f32_f16 v17, v134, v123
	v_dual_dot2acc_f32_f16 v56, v132, v126 :: v_dual_dot2acc_f32_f16 v19, v134, v125
	v_dual_dot2acc_f32_f16 v52, v132, v127 :: v_dual_dot2acc_f32_f16 v31, v135, v125
	v_dual_dot2acc_f32_f16 v54, v132, v128 :: v_dual_dot2acc_f32_f16 v29, v135, v123
	v_dual_dot2acc_f32_f16 v46, v133, v128 :: v_dual_dot2acc_f32_f16 v33, v136, v122
	v_dual_dot2acc_f32_f16 v44, v133, v129 :: v_dual_dot2acc_f32_f16 v21, v134, v127
	v_dual_dot2acc_f32_f16 v16, v134, v122 :: v_dual_dot2acc_f32_f16 v35, v136, v125
	v_dual_dot2acc_f32_f16 v18, v134, v124 :: v_dual_dot2acc_f32_f16 v57, v137, v122
	v_dual_dot2acc_f32_f16 v28, v135, v122 :: v_dual_dot2acc_f32_f16 v55, v137, v123
	v_dual_dot2acc_f32_f16 v30, v135, v124 :: v_dual_dot2acc_f32_f16 v59, v137, v125
	v_dual_dot2acc_f32_f16 v32, v136, v123 :: v_dual_dot2acc_f32_f16 v23, v134, v129
	v_dual_dot2acc_f32_f16 v34, v136, v124 :: v_dual_dot2acc_f32_f16 v25, v135, v126
	v_dual_dot2acc_f32_f16 v58, v137, v124 :: v_dual_dot2acc_f32_f16 v27, v135, v129
	v_dual_dot2acc_f32_f16 v20, v134, v126 :: v_dual_dot2acc_f32_f16 v39, v136, v127
	v_dual_dot2acc_f32_f16 v22, v134, v128 :: v_dual_dot2acc_f32_f16 v41, v136, v126
	v_dual_dot2acc_f32_f16 v24, v135, v127 :: v_dual_dot2acc_f32_f16 v43, v136, v129
	v_dual_dot2acc_f32_f16 v26, v135, v128 :: v_dual_dot2acc_f32_f16 v49, v137, v127
	v_dual_dot2acc_f32_f16 v42, v136, v128 :: v_dual_dot2acc_f32_f16 v53, v137, v129
	s_waitcnt lgkmcnt(14)
	v_dual_dot2acc_f32_f16 v48, v137, v126 :: v_dual_dot2acc_f32_f16 v77, v146, v139
	v_dual_dot2acc_f32_f16 v50, v137, v128 :: v_dual_dot2acc_f32_f16 v79, v146, v138
	ds_load_b128 v[110:113], v83 offset:28416
	ds_load_b128 v[118:121], v82 offset:11776
	;; [unrolled: 38-line block ×10, first 2 shown]
	ds_load_b128 v[166:169], v82 offset:16128
	v_dual_dot2acc_f32_f16 v78, v174, v172 :: v_dual_dot2acc_f32_f16 v67, v175, v170
	v_dual_dot2acc_f32_f16 v76, v174, v173 :: v_dual_dot2acc_f32_f16 v65, v175, v171
	v_dual_dot2acc_f32_f16 v66, v175, v172 :: v_dual_dot2acc_f32_f16 v61, v176, v173
	v_dual_dot2acc_f32_f16 v64, v175, v173 :: v_dual_dot2acc_f32_f16 v63, v176, v172
	v_dual_dot2acc_f32_f16 v62, v176, v170 :: v_dual_dot2acc_f32_f16 v37, v177, v173
	v_dual_dot2acc_f32_f16 v60, v176, v171 :: v_dual_dot2acc_f32_f16 v75, v174, v98
	v_dual_dot2acc_f32_f16 v38, v177, v170 :: v_dual_dot2acc_f32_f16 v73, v174, v100
	v_dual_dot2acc_f32_f16 v36, v177, v171 :: v_dual_dot2acc_f32_f16 v71, v175, v98
	v_dual_dot2acc_f32_f16 v40, v177, v172 :: v_dual_dot2acc_f32_f16 v69, v175, v99
	v_dual_dot2acc_f32_f16 v74, v174, v99 :: v_dual_dot2acc_f32_f16 v51, v176, v101
	v_dual_dot2acc_f32_f16 v72, v174, v101 :: v_dual_dot2acc_f32_f16 v47, v177, v98
	v_dual_dot2acc_f32_f16 v70, v175, v100 :: v_dual_dot2acc_f32_f16 v45, v177, v99
	s_waitcnt lgkmcnt(16)
	v_dual_dot2acc_f32_f16 v68, v175, v101 :: v_dual_dot2acc_f32_f16 v17, v102, v171
	v_dual_dot2acc_f32_f16 v56, v176, v98 :: v_dual_dot2acc_f32_f16 v19, v102, v173
	v_dual_dot2acc_f32_f16 v52, v176, v99 :: v_dual_dot2acc_f32_f16 v31, v103, v173
	v_dual_dot2acc_f32_f16 v54, v176, v100 :: v_dual_dot2acc_f32_f16 v29, v103, v171
	v_dual_dot2acc_f32_f16 v46, v177, v100 :: v_dual_dot2acc_f32_f16 v33, v104, v170
	v_dual_dot2acc_f32_f16 v44, v177, v101 :: v_dual_dot2acc_f32_f16 v21, v102, v99
	v_dual_dot2acc_f32_f16 v16, v102, v170 :: v_dual_dot2acc_f32_f16 v35, v104, v173
	v_dual_dot2acc_f32_f16 v18, v102, v172 :: v_dual_dot2acc_f32_f16 v57, v105, v170
	v_dual_dot2acc_f32_f16 v28, v103, v170 :: v_dual_dot2acc_f32_f16 v55, v105, v171
	v_dual_dot2acc_f32_f16 v30, v103, v172 :: v_dual_dot2acc_f32_f16 v59, v105, v173
	v_dual_dot2acc_f32_f16 v32, v104, v171 :: v_dual_dot2acc_f32_f16 v23, v102, v101
	v_dual_dot2acc_f32_f16 v34, v104, v172 :: v_dual_dot2acc_f32_f16 v25, v103, v98
	v_dual_dot2acc_f32_f16 v58, v105, v172 :: v_dual_dot2acc_f32_f16 v27, v103, v101
	v_dual_dot2acc_f32_f16 v20, v102, v98 :: v_dual_dot2acc_f32_f16 v39, v104, v99
	v_dual_dot2acc_f32_f16 v22, v102, v100 :: v_dual_dot2acc_f32_f16 v41, v104, v98
	v_dual_dot2acc_f32_f16 v24, v103, v99 :: v_dual_dot2acc_f32_f16 v43, v104, v101
	v_dual_dot2acc_f32_f16 v26, v103, v100 :: v_dual_dot2acc_f32_f16 v49, v105, v99
	v_dual_dot2acc_f32_f16 v42, v104, v100 :: v_dual_dot2acc_f32_f16 v53, v105, v101
	s_waitcnt lgkmcnt(13)
	v_dual_dot2acc_f32_f16 v48, v105, v98 :: v_dual_dot2acc_f32_f16 v77, v114, v91
	v_dual_dot2acc_f32_f16 v50, v105, v100 :: v_dual_dot2acc_f32_f16 v79, v114, v90
	v_dual_dot2acc_f32_f16 v78, v114, v92 :: v_dual_dot2acc_f32_f16 v67, v115, v90
	v_dual_dot2acc_f32_f16 v76, v114, v93 :: v_dual_dot2acc_f32_f16 v65, v115, v91
	v_dual_dot2acc_f32_f16 v66, v115, v92 :: v_dual_dot2acc_f32_f16 v61, v116, v93
	v_dual_dot2acc_f32_f16 v64, v115, v93 :: v_dual_dot2acc_f32_f16 v63, v116, v92
	v_dual_dot2acc_f32_f16 v62, v116, v90 :: v_dual_dot2acc_f32_f16 v37, v117, v93
	v_dual_dot2acc_f32_f16 v60, v116, v91 :: v_dual_dot2acc_f32_f16 v75, v114, v94
	v_dual_dot2acc_f32_f16 v38, v117, v90 :: v_dual_dot2acc_f32_f16 v73, v114, v96
	v_dual_dot2acc_f32_f16 v36, v117, v91 :: v_dual_dot2acc_f32_f16 v71, v115, v94
	v_dual_dot2acc_f32_f16 v40, v117, v92 :: v_dual_dot2acc_f32_f16 v69, v115, v95
	v_dual_dot2acc_f32_f16 v74, v114, v95 :: v_dual_dot2acc_f32_f16 v51, v116, v97
	v_dual_dot2acc_f32_f16 v72, v114, v97 :: v_dual_dot2acc_f32_f16 v47, v117, v94
	v_dual_dot2acc_f32_f16 v70, v115, v96 :: v_dual_dot2acc_f32_f16 v45, v117, v95
	s_waitcnt lgkmcnt(12)
	v_dual_dot2acc_f32_f16 v68, v115, v97 :: v_dual_dot2acc_f32_f16 v17, v118, v91
	v_dual_dot2acc_f32_f16 v56, v116, v94 :: v_dual_dot2acc_f32_f16 v19, v118, v93
	v_dual_dot2acc_f32_f16 v52, v116, v95 :: v_dual_dot2acc_f32_f16 v31, v119, v93
	v_dual_dot2acc_f32_f16 v54, v116, v96 :: v_dual_dot2acc_f32_f16 v29, v119, v91
	v_dual_dot2acc_f32_f16 v46, v117, v96 :: v_dual_dot2acc_f32_f16 v33, v120, v90
	v_dual_dot2acc_f32_f16 v44, v117, v97 :: v_dual_dot2acc_f32_f16 v21, v118, v95
	v_dual_dot2acc_f32_f16 v16, v118, v90 :: v_dual_dot2acc_f32_f16 v35, v120, v93
	v_dual_dot2acc_f32_f16 v18, v118, v92 :: v_dual_dot2acc_f32_f16 v57, v121, v90
	v_dual_dot2acc_f32_f16 v28, v119, v90 :: v_dual_dot2acc_f32_f16 v55, v121, v91
	v_dual_dot2acc_f32_f16 v30, v119, v92 :: v_dual_dot2acc_f32_f16 v59, v121, v93
	v_dual_dot2acc_f32_f16 v32, v120, v91 :: v_dual_dot2acc_f32_f16 v23, v118, v97
	v_dual_dot2acc_f32_f16 v34, v120, v92 :: v_dual_dot2acc_f32_f16 v25, v119, v94
	v_dual_dot2acc_f32_f16 v58, v121, v92 :: v_dual_dot2acc_f32_f16 v27, v119, v97
	v_dual_dot2acc_f32_f16 v20, v118, v94 :: v_dual_dot2acc_f32_f16 v39, v120, v95
	v_dual_dot2acc_f32_f16 v22, v118, v96 :: v_dual_dot2acc_f32_f16 v41, v120, v94
	v_dual_dot2acc_f32_f16 v24, v119, v95 :: v_dual_dot2acc_f32_f16 v43, v120, v97
	v_dual_dot2acc_f32_f16 v26, v119, v96 :: v_dual_dot2acc_f32_f16 v49, v121, v95
	v_dual_dot2acc_f32_f16 v42, v120, v96 :: v_dual_dot2acc_f32_f16 v53, v121, v97
	s_waitcnt lgkmcnt(9)
	v_dual_dot2acc_f32_f16 v48, v121, v94 :: v_dual_dot2acc_f32_f16 v77, v130, v107
	v_dual_dot2acc_f32_f16 v50, v121, v96 :: v_dual_dot2acc_f32_f16 v79, v130, v106
	v_dual_dot2acc_f32_f16 v78, v130, v108 :: v_dual_dot2acc_f32_f16 v67, v131, v106
	v_dual_dot2acc_f32_f16 v76, v130, v109 :: v_dual_dot2acc_f32_f16 v65, v131, v107
	v_dual_dot2acc_f32_f16 v66, v131, v108 :: v_dual_dot2acc_f32_f16 v61, v132, v109
	v_dual_dot2acc_f32_f16 v64, v131, v109 :: v_dual_dot2acc_f32_f16 v63, v132, v108
	v_dual_dot2acc_f32_f16 v62, v132, v106 :: v_dual_dot2acc_f32_f16 v37, v133, v109
	v_dual_dot2acc_f32_f16 v60, v132, v107 :: v_dual_dot2acc_f32_f16 v75, v130, v110
	v_dual_dot2acc_f32_f16 v38, v133, v106 :: v_dual_dot2acc_f32_f16 v73, v130, v112
	v_dual_dot2acc_f32_f16 v36, v133, v107 :: v_dual_dot2acc_f32_f16 v71, v131, v110
	v_dual_dot2acc_f32_f16 v40, v133, v108 :: v_dual_dot2acc_f32_f16 v69, v131, v111
	v_dual_dot2acc_f32_f16 v74, v130, v111 :: v_dual_dot2acc_f32_f16 v51, v132, v113
	v_dual_dot2acc_f32_f16 v72, v130, v113 :: v_dual_dot2acc_f32_f16 v47, v133, v110
	v_dual_dot2acc_f32_f16 v70, v131, v112 :: v_dual_dot2acc_f32_f16 v45, v133, v111
	s_waitcnt lgkmcnt(8)
	v_dual_dot2acc_f32_f16 v68, v131, v113 :: v_dual_dot2acc_f32_f16 v17, v134, v107
	v_dual_dot2acc_f32_f16 v56, v132, v110 :: v_dual_dot2acc_f32_f16 v19, v134, v109
	v_dual_dot2acc_f32_f16 v52, v132, v111 :: v_dual_dot2acc_f32_f16 v31, v135, v109
	v_dual_dot2acc_f32_f16 v54, v132, v112 :: v_dual_dot2acc_f32_f16 v29, v135, v107
	v_dual_dot2acc_f32_f16 v46, v133, v112 :: v_dual_dot2acc_f32_f16 v33, v136, v106
	v_dual_dot2acc_f32_f16 v44, v133, v113 :: v_dual_dot2acc_f32_f16 v21, v134, v111
	v_dual_dot2acc_f32_f16 v16, v134, v106 :: v_dual_dot2acc_f32_f16 v35, v136, v109
	v_dual_dot2acc_f32_f16 v18, v134, v108 :: v_dual_dot2acc_f32_f16 v57, v137, v106
	v_dual_dot2acc_f32_f16 v28, v135, v106 :: v_dual_dot2acc_f32_f16 v55, v137, v107
	v_dual_dot2acc_f32_f16 v30, v135, v108 :: v_dual_dot2acc_f32_f16 v59, v137, v109
	v_dual_dot2acc_f32_f16 v32, v136, v107 :: v_dual_dot2acc_f32_f16 v23, v134, v113
	v_dual_dot2acc_f32_f16 v34, v136, v108 :: v_dual_dot2acc_f32_f16 v25, v135, v110
	v_dual_dot2acc_f32_f16 v58, v137, v108 :: v_dual_dot2acc_f32_f16 v27, v135, v113
	v_dual_dot2acc_f32_f16 v20, v134, v110 :: v_dual_dot2acc_f32_f16 v39, v136, v111
	v_dual_dot2acc_f32_f16 v22, v134, v112 :: v_dual_dot2acc_f32_f16 v41, v136, v110
	v_dual_dot2acc_f32_f16 v24, v135, v111 :: v_dual_dot2acc_f32_f16 v43, v136, v113
	v_dual_dot2acc_f32_f16 v26, v135, v112 :: v_dual_dot2acc_f32_f16 v49, v137, v111
	v_dual_dot2acc_f32_f16 v42, v136, v112 :: v_dual_dot2acc_f32_f16 v53, v137, v113
	s_waitcnt lgkmcnt(5)
	v_dual_dot2acc_f32_f16 v48, v137, v110 :: v_dual_dot2acc_f32_f16 v77, v146, v123
	v_dual_dot2acc_f32_f16 v50, v137, v112 :: v_dual_dot2acc_f32_f16 v79, v146, v122
	v_dual_dot2acc_f32_f16 v78, v146, v124 :: v_dual_dot2acc_f32_f16 v67, v147, v122
	v_dual_dot2acc_f32_f16 v76, v146, v125 :: v_dual_dot2acc_f32_f16 v65, v147, v123
	v_dual_dot2acc_f32_f16 v66, v147, v124 :: v_dual_dot2acc_f32_f16 v61, v148, v125
	v_dual_dot2acc_f32_f16 v64, v147, v125 :: v_dual_dot2acc_f32_f16 v63, v148, v124
	v_dual_dot2acc_f32_f16 v62, v148, v122 :: v_dual_dot2acc_f32_f16 v37, v149, v125
	v_dual_dot2acc_f32_f16 v60, v148, v123 :: v_dual_dot2acc_f32_f16 v75, v146, v126
	v_dual_dot2acc_f32_f16 v38, v149, v122 :: v_dual_dot2acc_f32_f16 v73, v146, v128
	v_dual_dot2acc_f32_f16 v36, v149, v123 :: v_dual_dot2acc_f32_f16 v71, v147, v126
	v_dual_dot2acc_f32_f16 v40, v149, v124 :: v_dual_dot2acc_f32_f16 v69, v147, v127
	v_dual_dot2acc_f32_f16 v74, v146, v127 :: v_dual_dot2acc_f32_f16 v51, v148, v129
	v_dual_dot2acc_f32_f16 v72, v146, v129 :: v_dual_dot2acc_f32_f16 v47, v149, v126
	v_dual_dot2acc_f32_f16 v70, v147, v128 :: v_dual_dot2acc_f32_f16 v45, v149, v127
	s_waitcnt lgkmcnt(4)
	v_dual_dot2acc_f32_f16 v68, v147, v129 :: v_dual_dot2acc_f32_f16 v17, v150, v123
	v_dual_dot2acc_f32_f16 v56, v148, v126 :: v_dual_dot2acc_f32_f16 v19, v150, v125
	v_dual_dot2acc_f32_f16 v52, v148, v127 :: v_dual_dot2acc_f32_f16 v31, v151, v125
	v_dual_dot2acc_f32_f16 v54, v148, v128 :: v_dual_dot2acc_f32_f16 v29, v151, v123
	v_dual_dot2acc_f32_f16 v46, v149, v128 :: v_dual_dot2acc_f32_f16 v33, v152, v122
	v_dual_dot2acc_f32_f16 v44, v149, v129 :: v_dual_dot2acc_f32_f16 v21, v150, v127
	v_dual_dot2acc_f32_f16 v16, v150, v122 :: v_dual_dot2acc_f32_f16 v35, v152, v125
	v_dual_dot2acc_f32_f16 v18, v150, v124 :: v_dual_dot2acc_f32_f16 v57, v153, v122
	v_dual_dot2acc_f32_f16 v28, v151, v122 :: v_dual_dot2acc_f32_f16 v55, v153, v123
	v_dual_dot2acc_f32_f16 v30, v151, v124 :: v_dual_dot2acc_f32_f16 v59, v153, v125
	v_dual_dot2acc_f32_f16 v32, v152, v123 :: v_dual_dot2acc_f32_f16 v23, v150, v129
	v_dual_dot2acc_f32_f16 v34, v152, v124 :: v_dual_dot2acc_f32_f16 v25, v151, v126
	v_dual_dot2acc_f32_f16 v58, v153, v124 :: v_dual_dot2acc_f32_f16 v27, v151, v129
	v_dual_dot2acc_f32_f16 v20, v150, v126 :: v_dual_dot2acc_f32_f16 v39, v152, v127
	v_dual_dot2acc_f32_f16 v22, v150, v128 :: v_dual_dot2acc_f32_f16 v41, v152, v126
	v_dual_dot2acc_f32_f16 v24, v151, v127 :: v_dual_dot2acc_f32_f16 v43, v152, v129
	v_dual_dot2acc_f32_f16 v26, v151, v128 :: v_dual_dot2acc_f32_f16 v49, v153, v127
	v_dual_dot2acc_f32_f16 v42, v152, v128 :: v_dual_dot2acc_f32_f16 v53, v153, v129
	s_waitcnt lgkmcnt(1)
	v_dual_dot2acc_f32_f16 v48, v153, v126 :: v_dual_dot2acc_f32_f16 v77, v162, v139
	v_dual_dot2acc_f32_f16 v50, v153, v128 :: v_dual_dot2acc_f32_f16 v79, v162, v138
	v_dual_dot2acc_f32_f16 v78, v162, v140 :: v_dual_dot2acc_f32_f16 v67, v163, v138
	v_dual_dot2acc_f32_f16 v76, v162, v141 :: v_dual_dot2acc_f32_f16 v65, v163, v139
	;; [unrolled: 1-line block ×12, first 2 shown]
	s_waitcnt lgkmcnt(0)
	v_dual_dot2acc_f32_f16 v68, v163, v145 :: v_dual_dot2acc_f32_f16 v17, v166, v139
	v_dual_dot2acc_f32_f16 v56, v164, v142 :: v_dual_dot2acc_f32_f16 v19, v166, v141
	;; [unrolled: 1-line block ×18, first 2 shown]
	v_dot2acc_f32_f16 v48, v169, v142
	v_dot2acc_f32_f16 v50, v169, v144
	s_add_i32 s14, s14, 32
	v_perm_b32 v5, v186, v188, 0x7060302
	v_perm_b32 v4, v186, v188, 0x5040100
	;; [unrolled: 1-line block ×4, first 2 shown]
	s_add_i32 s18, s18, s16
	s_add_i32 s19, s19, s16
	;; [unrolled: 1-line block ×16, first 2 shown]
	v_perm_b32 v9, v192, v190, 0x7060302
	v_perm_b32 v8, v192, v190, 0x5040100
	;; [unrolled: 1-line block ×4, first 2 shown]
	s_cmp_lt_i32 s14, s15
	v_perm_b32 v13, v194, v196, 0x7060302
	v_perm_b32 v12, v194, v196, 0x5040100
	;; [unrolled: 1-line block ×4, first 2 shown]
	ds_store_b128 v84, v[0:3]
	ds_store_b128 v84, v[4:7] offset:512
	ds_store_b128 v84, v[8:11] offset:16384
	;; [unrolled: 1-line block ×3, first 2 shown]
	s_cbranch_scc1 .LBB2_1
; %bb.2:
	s_waitcnt lgkmcnt(0)
	s_barrier
	buffer_gl0_inv
	ds_load_b128 v[0:3], v82
	ds_load_b128 v[4:7], v83 offset:16384
	ds_load_b128 v[8:11], v83 offset:16640
	;; [unrolled: 1-line block ×4, first 2 shown]
	s_lshl_b32 s6, s6, 1
	s_waitcnt lgkmcnt(3)
	v_dual_dot2acc_f32_f16 v79, v0, v4 :: v_dual_dot2acc_f32_f16 v66, v1, v6
	v_dual_dot2acc_f32_f16 v77, v0, v5 :: v_dual_dot2acc_f32_f16 v64, v1, v7
	;; [unrolled: 1-line block ×5, first 2 shown]
	s_waitcnt lgkmcnt(2)
	v_dual_dot2acc_f32_f16 v60, v2, v5 :: v_dual_dot2acc_f32_f16 v75, v0, v8
	v_dual_dot2acc_f32_f16 v63, v2, v6 :: v_dual_dot2acc_f32_f16 v38, v3, v4
	;; [unrolled: 1-line block ×9, first 2 shown]
	s_waitcnt lgkmcnt(1)
	v_dual_dot2acc_f32_f16 v52, v2, v9 :: v_dual_dot2acc_f32_f16 v19, v12, v7
	v_dual_dot2acc_f32_f16 v54, v2, v10 :: v_dual_dot2acc_f32_f16 v17, v12, v5
	;; [unrolled: 1-line block ×4, first 2 shown]
	ds_load_b128 v[0:3], v82 offset:512
	v_dual_dot2acc_f32_f16 v16, v12, v4 :: v_dual_dot2acc_f32_f16 v31, v13, v7
	v_dual_dot2acc_f32_f16 v18, v12, v6 :: v_dual_dot2acc_f32_f16 v35, v14, v7
	;; [unrolled: 1-line block ×13, first 2 shown]
	ds_load_b128 v[4:7], v83 offset:17152
	v_dot2acc_f32_f16 v50, v15, v10
	v_dot2acc_f32_f16 v53, v15, v11
	ds_load_b128 v[8:11], v82 offset:768
	s_waitcnt lgkmcnt(2)
	v_dot2acc_f32_f16 v78, v0, v86
	v_dot2acc_f32_f16 v79, v0, v84
	v_dual_dot2acc_f32_f16 v77, v0, v85 :: v_dual_dot2acc_f32_f16 v66, v1, v86
	v_dual_dot2acc_f32_f16 v76, v0, v87 :: v_dual_dot2acc_f32_f16 v67, v1, v84
	v_dual_dot2acc_f32_f16 v65, v1, v85 :: v_dual_dot2acc_f32_f16 v62, v2, v84
	v_dual_dot2acc_f32_f16 v64, v1, v87 :: v_dual_dot2acc_f32_f16 v63, v2, v86
	v_dual_dot2acc_f32_f16 v60, v2, v85 :: v_dual_dot2acc_f32_f16 v37, v3, v87
	v_dual_dot2acc_f32_f16 v61, v2, v87 :: v_dual_dot2acc_f32_f16 v38, v3, v84
	v_dot2acc_f32_f16 v36, v3, v85
	s_waitcnt lgkmcnt(1)
	v_dual_dot2acc_f32_f16 v40, v3, v86 :: v_dual_dot2acc_f32_f16 v71, v1, v4
	v_dot2acc_f32_f16 v75, v0, v4
	v_dual_dot2acc_f32_f16 v74, v0, v5 :: v_dual_dot2acc_f32_f16 v51, v2, v7
	v_dual_dot2acc_f32_f16 v73, v0, v6 :: v_dual_dot2acc_f32_f16 v68, v1, v7
	;; [unrolled: 1-line block ×5, first 2 shown]
	s_waitcnt lgkmcnt(0)
	v_dual_dot2acc_f32_f16 v52, v2, v5 :: v_dual_dot2acc_f32_f16 v19, v8, v87
	v_dual_dot2acc_f32_f16 v54, v2, v6 :: v_dual_dot2acc_f32_f16 v17, v8, v85
	;; [unrolled: 1-line block ×4, first 2 shown]
	ds_load_b128 v[0:3], v82 offset:1024
	v_dual_dot2acc_f32_f16 v16, v8, v84 :: v_dual_dot2acc_f32_f16 v31, v9, v87
	v_dual_dot2acc_f32_f16 v18, v8, v86 :: v_dual_dot2acc_f32_f16 v35, v10, v87
	;; [unrolled: 1-line block ×7, first 2 shown]
	ds_load_b128 v[12:15], v83 offset:17408
	ds_load_b128 v[84:87], v83 offset:17664
	v_dual_dot2acc_f32_f16 v20, v8, v4 :: v_dual_dot2acc_f32_f16 v27, v9, v7
	v_dual_dot2acc_f32_f16 v22, v8, v6 :: v_dual_dot2acc_f32_f16 v25, v9, v4
	;; [unrolled: 1-line block ×6, first 2 shown]
	v_dot2acc_f32_f16 v50, v11, v6
	v_dot2acc_f32_f16 v53, v11, v7
	ds_load_b128 v[4:7], v82 offset:1280
	ds_load_b128 v[8:11], v83 offset:17920
	s_waitcnt lgkmcnt(3)
	v_dot2acc_f32_f16 v79, v0, v12
	v_dual_dot2acc_f32_f16 v77, v0, v13 :: v_dual_dot2acc_f32_f16 v66, v1, v14
	v_dot2acc_f32_f16 v78, v0, v14
	v_dual_dot2acc_f32_f16 v76, v0, v15 :: v_dual_dot2acc_f32_f16 v67, v1, v12
	v_dual_dot2acc_f32_f16 v65, v1, v13 :: v_dual_dot2acc_f32_f16 v62, v2, v12
	;; [unrolled: 1-line block ×5, first 2 shown]
	s_waitcnt lgkmcnt(2)
	v_dual_dot2acc_f32_f16 v36, v3, v13 :: v_dual_dot2acc_f32_f16 v75, v0, v84
	v_dual_dot2acc_f32_f16 v40, v3, v14 :: v_dual_dot2acc_f32_f16 v71, v1, v84
	;; [unrolled: 1-line block ×7, first 2 shown]
	s_waitcnt lgkmcnt(1)
	v_dual_dot2acc_f32_f16 v52, v2, v85 :: v_dual_dot2acc_f32_f16 v19, v4, v15
	v_dual_dot2acc_f32_f16 v54, v2, v86 :: v_dual_dot2acc_f32_f16 v17, v4, v13
	;; [unrolled: 1-line block ×4, first 2 shown]
	ds_load_b128 v[0:3], v82 offset:1536
	v_dual_dot2acc_f32_f16 v16, v4, v12 :: v_dual_dot2acc_f32_f16 v31, v5, v15
	v_dual_dot2acc_f32_f16 v18, v4, v14 :: v_dual_dot2acc_f32_f16 v35, v6, v15
	;; [unrolled: 1-line block ×13, first 2 shown]
	ds_load_b128 v[12:15], v83 offset:18176
	v_dot2acc_f32_f16 v50, v7, v86
	v_dot2acc_f32_f16 v53, v7, v87
	ds_load_b128 v[4:7], v82 offset:1792
	s_waitcnt lgkmcnt(2)
	v_dot2acc_f32_f16 v78, v0, v10
	v_dot2acc_f32_f16 v79, v0, v8
	v_dual_dot2acc_f32_f16 v77, v0, v9 :: v_dual_dot2acc_f32_f16 v66, v1, v10
	v_dual_dot2acc_f32_f16 v76, v0, v11 :: v_dual_dot2acc_f32_f16 v67, v1, v8
	;; [unrolled: 1-line block ×6, first 2 shown]
	v_dot2acc_f32_f16 v36, v3, v9
	s_waitcnt lgkmcnt(1)
	v_dual_dot2acc_f32_f16 v40, v3, v10 :: v_dual_dot2acc_f32_f16 v71, v1, v12
	v_dot2acc_f32_f16 v75, v0, v12
	v_dual_dot2acc_f32_f16 v74, v0, v13 :: v_dual_dot2acc_f32_f16 v51, v2, v15
	v_dual_dot2acc_f32_f16 v73, v0, v14 :: v_dual_dot2acc_f32_f16 v68, v1, v15
	;; [unrolled: 1-line block ×5, first 2 shown]
	s_waitcnt lgkmcnt(0)
	v_dual_dot2acc_f32_f16 v52, v2, v13 :: v_dual_dot2acc_f32_f16 v19, v4, v11
	v_dual_dot2acc_f32_f16 v54, v2, v14 :: v_dual_dot2acc_f32_f16 v17, v4, v9
	v_dual_dot2acc_f32_f16 v46, v3, v14 :: v_dual_dot2acc_f32_f16 v29, v5, v9
	v_dual_dot2acc_f32_f16 v44, v3, v15 :: v_dual_dot2acc_f32_f16 v33, v6, v8
	ds_load_b128 v[0:3], v82 offset:2048
	v_dual_dot2acc_f32_f16 v16, v4, v8 :: v_dual_dot2acc_f32_f16 v31, v5, v11
	v_dual_dot2acc_f32_f16 v18, v4, v10 :: v_dual_dot2acc_f32_f16 v35, v6, v11
	v_dual_dot2acc_f32_f16 v28, v5, v8 :: v_dual_dot2acc_f32_f16 v55, v7, v9
	v_dual_dot2acc_f32_f16 v30, v5, v10 :: v_dual_dot2acc_f32_f16 v57, v7, v8
	v_dual_dot2acc_f32_f16 v32, v6, v9 :: v_dual_dot2acc_f32_f16 v59, v7, v11
	v_dual_dot2acc_f32_f16 v34, v6, v10 :: v_dual_dot2acc_f32_f16 v21, v4, v13
	v_dual_dot2acc_f32_f16 v58, v7, v10 :: v_dual_dot2acc_f32_f16 v23, v4, v15
	ds_load_b128 v[84:87], v83 offset:18432
	ds_load_b128 v[8:11], v83 offset:18688
	v_dual_dot2acc_f32_f16 v20, v4, v12 :: v_dual_dot2acc_f32_f16 v27, v5, v15
	v_dual_dot2acc_f32_f16 v22, v4, v14 :: v_dual_dot2acc_f32_f16 v25, v5, v12
	;; [unrolled: 1-line block ×6, first 2 shown]
	v_dot2acc_f32_f16 v50, v7, v14
	v_dot2acc_f32_f16 v53, v7, v15
	ds_load_b128 v[4:7], v82 offset:2304
	ds_load_b128 v[12:15], v83 offset:18944
	s_waitcnt lgkmcnt(3)
	v_dot2acc_f32_f16 v79, v0, v84
	v_dual_dot2acc_f32_f16 v77, v0, v85 :: v_dual_dot2acc_f32_f16 v66, v1, v86
	v_dot2acc_f32_f16 v78, v0, v86
	v_dual_dot2acc_f32_f16 v76, v0, v87 :: v_dual_dot2acc_f32_f16 v67, v1, v84
	v_dual_dot2acc_f32_f16 v65, v1, v85 :: v_dual_dot2acc_f32_f16 v62, v2, v84
	;; [unrolled: 1-line block ×5, first 2 shown]
	s_waitcnt lgkmcnt(2)
	v_dual_dot2acc_f32_f16 v36, v3, v85 :: v_dual_dot2acc_f32_f16 v75, v0, v8
	v_dual_dot2acc_f32_f16 v40, v3, v86 :: v_dual_dot2acc_f32_f16 v71, v1, v8
	;; [unrolled: 1-line block ×7, first 2 shown]
	s_waitcnt lgkmcnt(1)
	v_dual_dot2acc_f32_f16 v52, v2, v9 :: v_dual_dot2acc_f32_f16 v19, v4, v87
	v_dual_dot2acc_f32_f16 v54, v2, v10 :: v_dual_dot2acc_f32_f16 v17, v4, v85
	;; [unrolled: 1-line block ×4, first 2 shown]
	ds_load_b128 v[0:3], v82 offset:2560
	v_dual_dot2acc_f32_f16 v16, v4, v84 :: v_dual_dot2acc_f32_f16 v31, v5, v87
	v_dual_dot2acc_f32_f16 v18, v4, v86 :: v_dual_dot2acc_f32_f16 v35, v6, v87
	;; [unrolled: 1-line block ×13, first 2 shown]
	ds_load_b128 v[84:87], v83 offset:19200
	v_dot2acc_f32_f16 v50, v7, v10
	v_dot2acc_f32_f16 v53, v7, v11
	ds_load_b128 v[4:7], v82 offset:2816
	s_waitcnt lgkmcnt(2)
	v_dot2acc_f32_f16 v78, v0, v14
	v_dot2acc_f32_f16 v79, v0, v12
	v_dual_dot2acc_f32_f16 v77, v0, v13 :: v_dual_dot2acc_f32_f16 v66, v1, v14
	v_dual_dot2acc_f32_f16 v76, v0, v15 :: v_dual_dot2acc_f32_f16 v67, v1, v12
	;; [unrolled: 1-line block ×6, first 2 shown]
	v_dot2acc_f32_f16 v36, v3, v13
	s_waitcnt lgkmcnt(1)
	v_dual_dot2acc_f32_f16 v40, v3, v14 :: v_dual_dot2acc_f32_f16 v71, v1, v84
	v_dot2acc_f32_f16 v75, v0, v84
	v_dual_dot2acc_f32_f16 v74, v0, v85 :: v_dual_dot2acc_f32_f16 v51, v2, v87
	v_dual_dot2acc_f32_f16 v73, v0, v86 :: v_dual_dot2acc_f32_f16 v68, v1, v87
	;; [unrolled: 1-line block ×5, first 2 shown]
	s_waitcnt lgkmcnt(0)
	v_dual_dot2acc_f32_f16 v52, v2, v85 :: v_dual_dot2acc_f32_f16 v19, v4, v15
	v_dual_dot2acc_f32_f16 v54, v2, v86 :: v_dual_dot2acc_f32_f16 v17, v4, v13
	;; [unrolled: 1-line block ×4, first 2 shown]
	ds_load_b128 v[0:3], v82 offset:3072
	v_dual_dot2acc_f32_f16 v16, v4, v12 :: v_dual_dot2acc_f32_f16 v31, v5, v15
	v_dual_dot2acc_f32_f16 v18, v4, v14 :: v_dual_dot2acc_f32_f16 v35, v6, v15
	;; [unrolled: 1-line block ×7, first 2 shown]
	ds_load_b128 v[8:11], v83 offset:19456
	ds_load_b128 v[12:15], v83 offset:19712
	v_dual_dot2acc_f32_f16 v20, v4, v84 :: v_dual_dot2acc_f32_f16 v27, v5, v87
	v_dual_dot2acc_f32_f16 v22, v4, v86 :: v_dual_dot2acc_f32_f16 v25, v5, v84
	;; [unrolled: 1-line block ×6, first 2 shown]
	v_dot2acc_f32_f16 v50, v7, v86
	v_dot2acc_f32_f16 v53, v7, v87
	ds_load_b128 v[4:7], v82 offset:3328
	ds_load_b128 v[84:87], v83 offset:19968
	s_waitcnt lgkmcnt(3)
	v_dot2acc_f32_f16 v79, v0, v8
	v_dual_dot2acc_f32_f16 v77, v0, v9 :: v_dual_dot2acc_f32_f16 v66, v1, v10
	v_dot2acc_f32_f16 v78, v0, v10
	v_dual_dot2acc_f32_f16 v76, v0, v11 :: v_dual_dot2acc_f32_f16 v67, v1, v8
	v_dual_dot2acc_f32_f16 v65, v1, v9 :: v_dual_dot2acc_f32_f16 v62, v2, v8
	;; [unrolled: 1-line block ×5, first 2 shown]
	s_waitcnt lgkmcnt(2)
	v_dual_dot2acc_f32_f16 v36, v3, v9 :: v_dual_dot2acc_f32_f16 v75, v0, v12
	v_dual_dot2acc_f32_f16 v40, v3, v10 :: v_dual_dot2acc_f32_f16 v71, v1, v12
	;; [unrolled: 1-line block ×7, first 2 shown]
	s_waitcnt lgkmcnt(1)
	v_dual_dot2acc_f32_f16 v52, v2, v13 :: v_dual_dot2acc_f32_f16 v19, v4, v11
	v_dual_dot2acc_f32_f16 v54, v2, v14 :: v_dual_dot2acc_f32_f16 v17, v4, v9
	;; [unrolled: 1-line block ×4, first 2 shown]
	ds_load_b128 v[0:3], v82 offset:3584
	v_dual_dot2acc_f32_f16 v16, v4, v8 :: v_dual_dot2acc_f32_f16 v31, v5, v11
	v_dual_dot2acc_f32_f16 v18, v4, v10 :: v_dual_dot2acc_f32_f16 v35, v6, v11
	;; [unrolled: 1-line block ×13, first 2 shown]
	ds_load_b128 v[8:11], v83 offset:20224
	v_dot2acc_f32_f16 v50, v7, v14
	v_dot2acc_f32_f16 v53, v7, v15
	ds_load_b128 v[4:7], v82 offset:3840
	s_waitcnt lgkmcnt(2)
	v_dot2acc_f32_f16 v78, v0, v86
	v_dot2acc_f32_f16 v79, v0, v84
	v_dual_dot2acc_f32_f16 v77, v0, v85 :: v_dual_dot2acc_f32_f16 v66, v1, v86
	v_dual_dot2acc_f32_f16 v76, v0, v87 :: v_dual_dot2acc_f32_f16 v67, v1, v84
	;; [unrolled: 1-line block ×6, first 2 shown]
	v_dot2acc_f32_f16 v36, v3, v85
	s_waitcnt lgkmcnt(1)
	v_dual_dot2acc_f32_f16 v40, v3, v86 :: v_dual_dot2acc_f32_f16 v71, v1, v8
	v_dot2acc_f32_f16 v75, v0, v8
	v_dual_dot2acc_f32_f16 v74, v0, v9 :: v_dual_dot2acc_f32_f16 v51, v2, v11
	v_dual_dot2acc_f32_f16 v73, v0, v10 :: v_dual_dot2acc_f32_f16 v68, v1, v11
	v_dual_dot2acc_f32_f16 v72, v0, v11 :: v_dual_dot2acc_f32_f16 v69, v1, v9
	v_dual_dot2acc_f32_f16 v70, v1, v10 :: v_dual_dot2acc_f32_f16 v47, v3, v8
	v_dual_dot2acc_f32_f16 v56, v2, v8 :: v_dual_dot2acc_f32_f16 v45, v3, v9
	s_waitcnt lgkmcnt(0)
	v_dual_dot2acc_f32_f16 v52, v2, v9 :: v_dual_dot2acc_f32_f16 v19, v4, v87
	v_dual_dot2acc_f32_f16 v54, v2, v10 :: v_dual_dot2acc_f32_f16 v17, v4, v85
	;; [unrolled: 1-line block ×4, first 2 shown]
	ds_load_b128 v[0:3], v82 offset:4096
	v_dual_dot2acc_f32_f16 v16, v4, v84 :: v_dual_dot2acc_f32_f16 v31, v5, v87
	v_dual_dot2acc_f32_f16 v18, v4, v86 :: v_dual_dot2acc_f32_f16 v35, v6, v87
	;; [unrolled: 1-line block ×7, first 2 shown]
	ds_load_b128 v[12:15], v83 offset:20480
	ds_load_b128 v[84:87], v83 offset:20736
	v_dual_dot2acc_f32_f16 v20, v4, v8 :: v_dual_dot2acc_f32_f16 v27, v5, v11
	v_dual_dot2acc_f32_f16 v22, v4, v10 :: v_dual_dot2acc_f32_f16 v25, v5, v8
	;; [unrolled: 1-line block ×6, first 2 shown]
	v_dot2acc_f32_f16 v50, v7, v10
	v_dot2acc_f32_f16 v53, v7, v11
	ds_load_b128 v[4:7], v82 offset:4352
	ds_load_b128 v[8:11], v83 offset:20992
	s_waitcnt lgkmcnt(3)
	v_dot2acc_f32_f16 v79, v0, v12
	v_dual_dot2acc_f32_f16 v77, v0, v13 :: v_dual_dot2acc_f32_f16 v66, v1, v14
	v_dot2acc_f32_f16 v78, v0, v14
	v_dual_dot2acc_f32_f16 v76, v0, v15 :: v_dual_dot2acc_f32_f16 v67, v1, v12
	v_dual_dot2acc_f32_f16 v65, v1, v13 :: v_dual_dot2acc_f32_f16 v62, v2, v12
	;; [unrolled: 1-line block ×5, first 2 shown]
	s_waitcnt lgkmcnt(2)
	v_dual_dot2acc_f32_f16 v36, v3, v13 :: v_dual_dot2acc_f32_f16 v75, v0, v84
	v_dual_dot2acc_f32_f16 v40, v3, v14 :: v_dual_dot2acc_f32_f16 v71, v1, v84
	;; [unrolled: 1-line block ×7, first 2 shown]
	s_waitcnt lgkmcnt(1)
	v_dual_dot2acc_f32_f16 v52, v2, v85 :: v_dual_dot2acc_f32_f16 v19, v4, v15
	v_dual_dot2acc_f32_f16 v54, v2, v86 :: v_dual_dot2acc_f32_f16 v17, v4, v13
	;; [unrolled: 1-line block ×4, first 2 shown]
	ds_load_b128 v[0:3], v82 offset:4608
	v_dual_dot2acc_f32_f16 v16, v4, v12 :: v_dual_dot2acc_f32_f16 v31, v5, v15
	v_dual_dot2acc_f32_f16 v18, v4, v14 :: v_dual_dot2acc_f32_f16 v35, v6, v15
	v_dual_dot2acc_f32_f16 v28, v5, v12 :: v_dual_dot2acc_f32_f16 v55, v7, v13
	v_dual_dot2acc_f32_f16 v30, v5, v14 :: v_dual_dot2acc_f32_f16 v57, v7, v12
	v_dual_dot2acc_f32_f16 v32, v6, v13 :: v_dual_dot2acc_f32_f16 v59, v7, v15
	v_dual_dot2acc_f32_f16 v34, v6, v14 :: v_dual_dot2acc_f32_f16 v21, v4, v85
	v_dual_dot2acc_f32_f16 v58, v7, v14 :: v_dual_dot2acc_f32_f16 v23, v4, v87
	v_dual_dot2acc_f32_f16 v20, v4, v84 :: v_dual_dot2acc_f32_f16 v27, v5, v87
	v_dual_dot2acc_f32_f16 v22, v4, v86 :: v_dual_dot2acc_f32_f16 v25, v5, v84
	v_dual_dot2acc_f32_f16 v24, v5, v85 :: v_dual_dot2acc_f32_f16 v41, v6, v84
	v_dual_dot2acc_f32_f16 v26, v5, v86 :: v_dual_dot2acc_f32_f16 v39, v6, v85
	v_dual_dot2acc_f32_f16 v42, v6, v86 :: v_dual_dot2acc_f32_f16 v49, v7, v85
	v_dual_dot2acc_f32_f16 v43, v6, v87 :: v_dual_dot2acc_f32_f16 v48, v7, v84
	ds_load_b128 v[12:15], v83 offset:21248
	v_dot2acc_f32_f16 v50, v7, v86
	v_dot2acc_f32_f16 v53, v7, v87
	ds_load_b128 v[4:7], v82 offset:4864
	s_waitcnt lgkmcnt(2)
	v_dot2acc_f32_f16 v78, v0, v10
	v_dot2acc_f32_f16 v79, v0, v8
	v_dual_dot2acc_f32_f16 v77, v0, v9 :: v_dual_dot2acc_f32_f16 v66, v1, v10
	v_dual_dot2acc_f32_f16 v76, v0, v11 :: v_dual_dot2acc_f32_f16 v67, v1, v8
	;; [unrolled: 1-line block ×6, first 2 shown]
	v_dot2acc_f32_f16 v36, v3, v9
	s_waitcnt lgkmcnt(1)
	v_dual_dot2acc_f32_f16 v40, v3, v10 :: v_dual_dot2acc_f32_f16 v71, v1, v12
	v_dot2acc_f32_f16 v75, v0, v12
	v_dual_dot2acc_f32_f16 v74, v0, v13 :: v_dual_dot2acc_f32_f16 v51, v2, v15
	v_dual_dot2acc_f32_f16 v73, v0, v14 :: v_dual_dot2acc_f32_f16 v68, v1, v15
	;; [unrolled: 1-line block ×5, first 2 shown]
	s_waitcnt lgkmcnt(0)
	v_dual_dot2acc_f32_f16 v52, v2, v13 :: v_dual_dot2acc_f32_f16 v19, v4, v11
	v_dual_dot2acc_f32_f16 v54, v2, v14 :: v_dual_dot2acc_f32_f16 v17, v4, v9
	;; [unrolled: 1-line block ×4, first 2 shown]
	ds_load_b128 v[0:3], v82 offset:5120
	v_dual_dot2acc_f32_f16 v16, v4, v8 :: v_dual_dot2acc_f32_f16 v31, v5, v11
	v_dual_dot2acc_f32_f16 v18, v4, v10 :: v_dual_dot2acc_f32_f16 v35, v6, v11
	;; [unrolled: 1-line block ×7, first 2 shown]
	ds_load_b128 v[84:87], v83 offset:21504
	ds_load_b128 v[8:11], v83 offset:21760
	v_dual_dot2acc_f32_f16 v20, v4, v12 :: v_dual_dot2acc_f32_f16 v27, v5, v15
	v_dual_dot2acc_f32_f16 v22, v4, v14 :: v_dual_dot2acc_f32_f16 v25, v5, v12
	;; [unrolled: 1-line block ×6, first 2 shown]
	v_dot2acc_f32_f16 v50, v7, v14
	v_dot2acc_f32_f16 v53, v7, v15
	ds_load_b128 v[4:7], v82 offset:5376
	ds_load_b128 v[12:15], v83 offset:22016
	s_waitcnt lgkmcnt(3)
	v_dot2acc_f32_f16 v79, v0, v84
	v_dual_dot2acc_f32_f16 v77, v0, v85 :: v_dual_dot2acc_f32_f16 v66, v1, v86
	v_dot2acc_f32_f16 v78, v0, v86
	v_dual_dot2acc_f32_f16 v76, v0, v87 :: v_dual_dot2acc_f32_f16 v67, v1, v84
	v_dual_dot2acc_f32_f16 v65, v1, v85 :: v_dual_dot2acc_f32_f16 v62, v2, v84
	;; [unrolled: 1-line block ×5, first 2 shown]
	s_waitcnt lgkmcnt(2)
	v_dual_dot2acc_f32_f16 v36, v3, v85 :: v_dual_dot2acc_f32_f16 v75, v0, v8
	v_dual_dot2acc_f32_f16 v40, v3, v86 :: v_dual_dot2acc_f32_f16 v71, v1, v8
	;; [unrolled: 1-line block ×7, first 2 shown]
	s_waitcnt lgkmcnt(1)
	v_dual_dot2acc_f32_f16 v52, v2, v9 :: v_dual_dot2acc_f32_f16 v19, v4, v87
	v_dual_dot2acc_f32_f16 v54, v2, v10 :: v_dual_dot2acc_f32_f16 v17, v4, v85
	;; [unrolled: 1-line block ×4, first 2 shown]
	ds_load_b128 v[0:3], v82 offset:5632
	v_dual_dot2acc_f32_f16 v16, v4, v84 :: v_dual_dot2acc_f32_f16 v31, v5, v87
	v_dual_dot2acc_f32_f16 v18, v4, v86 :: v_dual_dot2acc_f32_f16 v35, v6, v87
	;; [unrolled: 1-line block ×13, first 2 shown]
	ds_load_b128 v[84:87], v83 offset:22272
	v_dot2acc_f32_f16 v50, v7, v10
	v_dot2acc_f32_f16 v53, v7, v11
	ds_load_b128 v[4:7], v82 offset:5888
	s_waitcnt lgkmcnt(2)
	v_dot2acc_f32_f16 v78, v0, v14
	v_dot2acc_f32_f16 v79, v0, v12
	v_dual_dot2acc_f32_f16 v77, v0, v13 :: v_dual_dot2acc_f32_f16 v66, v1, v14
	v_dual_dot2acc_f32_f16 v76, v0, v15 :: v_dual_dot2acc_f32_f16 v67, v1, v12
	;; [unrolled: 1-line block ×6, first 2 shown]
	v_dot2acc_f32_f16 v36, v3, v13
	s_waitcnt lgkmcnt(1)
	v_dual_dot2acc_f32_f16 v40, v3, v14 :: v_dual_dot2acc_f32_f16 v71, v1, v84
	v_dot2acc_f32_f16 v75, v0, v84
	v_dual_dot2acc_f32_f16 v74, v0, v85 :: v_dual_dot2acc_f32_f16 v51, v2, v87
	v_dual_dot2acc_f32_f16 v73, v0, v86 :: v_dual_dot2acc_f32_f16 v68, v1, v87
	;; [unrolled: 1-line block ×5, first 2 shown]
	s_waitcnt lgkmcnt(0)
	v_dual_dot2acc_f32_f16 v52, v2, v85 :: v_dual_dot2acc_f32_f16 v19, v4, v15
	v_dual_dot2acc_f32_f16 v54, v2, v86 :: v_dual_dot2acc_f32_f16 v17, v4, v13
	;; [unrolled: 1-line block ×4, first 2 shown]
	ds_load_b128 v[0:3], v82 offset:6144
	v_dual_dot2acc_f32_f16 v16, v4, v12 :: v_dual_dot2acc_f32_f16 v31, v5, v15
	v_dual_dot2acc_f32_f16 v18, v4, v14 :: v_dual_dot2acc_f32_f16 v35, v6, v15
	v_dual_dot2acc_f32_f16 v28, v5, v12 :: v_dual_dot2acc_f32_f16 v55, v7, v13
	v_dual_dot2acc_f32_f16 v30, v5, v14 :: v_dual_dot2acc_f32_f16 v57, v7, v12
	v_dual_dot2acc_f32_f16 v32, v6, v13 :: v_dual_dot2acc_f32_f16 v59, v7, v15
	v_dual_dot2acc_f32_f16 v34, v6, v14 :: v_dual_dot2acc_f32_f16 v21, v4, v85
	v_dual_dot2acc_f32_f16 v58, v7, v14 :: v_dual_dot2acc_f32_f16 v23, v4, v87
	ds_load_b128 v[8:11], v83 offset:22528
	ds_load_b128 v[12:15], v83 offset:22784
	v_dual_dot2acc_f32_f16 v20, v4, v84 :: v_dual_dot2acc_f32_f16 v27, v5, v87
	v_dual_dot2acc_f32_f16 v22, v4, v86 :: v_dual_dot2acc_f32_f16 v25, v5, v84
	;; [unrolled: 1-line block ×6, first 2 shown]
	v_dot2acc_f32_f16 v50, v7, v86
	v_dot2acc_f32_f16 v53, v7, v87
	ds_load_b128 v[4:7], v82 offset:6400
	ds_load_b128 v[84:87], v83 offset:23040
	s_waitcnt lgkmcnt(3)
	v_dot2acc_f32_f16 v79, v0, v8
	v_dual_dot2acc_f32_f16 v77, v0, v9 :: v_dual_dot2acc_f32_f16 v66, v1, v10
	v_dot2acc_f32_f16 v78, v0, v10
	v_dual_dot2acc_f32_f16 v76, v0, v11 :: v_dual_dot2acc_f32_f16 v67, v1, v8
	v_dual_dot2acc_f32_f16 v65, v1, v9 :: v_dual_dot2acc_f32_f16 v62, v2, v8
	;; [unrolled: 1-line block ×5, first 2 shown]
	s_waitcnt lgkmcnt(2)
	v_dual_dot2acc_f32_f16 v36, v3, v9 :: v_dual_dot2acc_f32_f16 v75, v0, v12
	v_dual_dot2acc_f32_f16 v40, v3, v10 :: v_dual_dot2acc_f32_f16 v71, v1, v12
	;; [unrolled: 1-line block ×7, first 2 shown]
	s_waitcnt lgkmcnt(1)
	v_dual_dot2acc_f32_f16 v52, v2, v13 :: v_dual_dot2acc_f32_f16 v19, v4, v11
	v_dual_dot2acc_f32_f16 v54, v2, v14 :: v_dual_dot2acc_f32_f16 v17, v4, v9
	;; [unrolled: 1-line block ×4, first 2 shown]
	ds_load_b128 v[0:3], v82 offset:6656
	v_dual_dot2acc_f32_f16 v16, v4, v8 :: v_dual_dot2acc_f32_f16 v31, v5, v11
	v_dual_dot2acc_f32_f16 v18, v4, v10 :: v_dual_dot2acc_f32_f16 v35, v6, v11
	v_dual_dot2acc_f32_f16 v28, v5, v8 :: v_dual_dot2acc_f32_f16 v55, v7, v9
	v_dual_dot2acc_f32_f16 v30, v5, v10 :: v_dual_dot2acc_f32_f16 v57, v7, v8
	v_dual_dot2acc_f32_f16 v32, v6, v9 :: v_dual_dot2acc_f32_f16 v59, v7, v11
	v_dual_dot2acc_f32_f16 v34, v6, v10 :: v_dual_dot2acc_f32_f16 v21, v4, v13
	v_dual_dot2acc_f32_f16 v58, v7, v10 :: v_dual_dot2acc_f32_f16 v23, v4, v15
	v_dual_dot2acc_f32_f16 v20, v4, v12 :: v_dual_dot2acc_f32_f16 v27, v5, v15
	v_dual_dot2acc_f32_f16 v22, v4, v14 :: v_dual_dot2acc_f32_f16 v25, v5, v12
	v_dual_dot2acc_f32_f16 v24, v5, v13 :: v_dual_dot2acc_f32_f16 v41, v6, v12
	v_dual_dot2acc_f32_f16 v26, v5, v14 :: v_dual_dot2acc_f32_f16 v39, v6, v13
	v_dual_dot2acc_f32_f16 v42, v6, v14 :: v_dual_dot2acc_f32_f16 v49, v7, v13
	v_dual_dot2acc_f32_f16 v43, v6, v15 :: v_dual_dot2acc_f32_f16 v48, v7, v12
	ds_load_b128 v[8:11], v83 offset:23296
	v_dot2acc_f32_f16 v50, v7, v14
	v_dot2acc_f32_f16 v53, v7, v15
	ds_load_b128 v[4:7], v82 offset:6912
	s_waitcnt lgkmcnt(2)
	v_dot2acc_f32_f16 v78, v0, v86
	v_dot2acc_f32_f16 v79, v0, v84
	v_dual_dot2acc_f32_f16 v77, v0, v85 :: v_dual_dot2acc_f32_f16 v66, v1, v86
	v_dual_dot2acc_f32_f16 v76, v0, v87 :: v_dual_dot2acc_f32_f16 v67, v1, v84
	;; [unrolled: 1-line block ×6, first 2 shown]
	v_dot2acc_f32_f16 v36, v3, v85
	s_waitcnt lgkmcnt(1)
	v_dual_dot2acc_f32_f16 v40, v3, v86 :: v_dual_dot2acc_f32_f16 v71, v1, v8
	v_dot2acc_f32_f16 v75, v0, v8
	v_dual_dot2acc_f32_f16 v74, v0, v9 :: v_dual_dot2acc_f32_f16 v51, v2, v11
	v_dual_dot2acc_f32_f16 v73, v0, v10 :: v_dual_dot2acc_f32_f16 v68, v1, v11
	;; [unrolled: 1-line block ×5, first 2 shown]
	s_waitcnt lgkmcnt(0)
	v_dual_dot2acc_f32_f16 v52, v2, v9 :: v_dual_dot2acc_f32_f16 v19, v4, v87
	v_dual_dot2acc_f32_f16 v54, v2, v10 :: v_dual_dot2acc_f32_f16 v17, v4, v85
	;; [unrolled: 1-line block ×4, first 2 shown]
	ds_load_b128 v[0:3], v82 offset:7168
	v_dual_dot2acc_f32_f16 v16, v4, v84 :: v_dual_dot2acc_f32_f16 v31, v5, v87
	v_dual_dot2acc_f32_f16 v18, v4, v86 :: v_dual_dot2acc_f32_f16 v35, v6, v87
	;; [unrolled: 1-line block ×7, first 2 shown]
	ds_load_b128 v[12:15], v83 offset:23552
	ds_load_b128 v[84:87], v83 offset:23808
	v_dual_dot2acc_f32_f16 v20, v4, v8 :: v_dual_dot2acc_f32_f16 v27, v5, v11
	v_dual_dot2acc_f32_f16 v22, v4, v10 :: v_dual_dot2acc_f32_f16 v25, v5, v8
	;; [unrolled: 1-line block ×6, first 2 shown]
	v_dot2acc_f32_f16 v50, v7, v10
	v_dot2acc_f32_f16 v53, v7, v11
	ds_load_b128 v[4:7], v82 offset:7424
	ds_load_b128 v[8:11], v83 offset:24064
	s_waitcnt lgkmcnt(3)
	v_dot2acc_f32_f16 v79, v0, v12
	v_dual_dot2acc_f32_f16 v77, v0, v13 :: v_dual_dot2acc_f32_f16 v66, v1, v14
	v_dot2acc_f32_f16 v78, v0, v14
	v_dual_dot2acc_f32_f16 v76, v0, v15 :: v_dual_dot2acc_f32_f16 v67, v1, v12
	v_dual_dot2acc_f32_f16 v65, v1, v13 :: v_dual_dot2acc_f32_f16 v62, v2, v12
	;; [unrolled: 1-line block ×5, first 2 shown]
	s_waitcnt lgkmcnt(2)
	v_dual_dot2acc_f32_f16 v36, v3, v13 :: v_dual_dot2acc_f32_f16 v75, v0, v84
	v_dual_dot2acc_f32_f16 v40, v3, v14 :: v_dual_dot2acc_f32_f16 v71, v1, v84
	;; [unrolled: 1-line block ×7, first 2 shown]
	s_waitcnt lgkmcnt(1)
	v_dual_dot2acc_f32_f16 v52, v2, v85 :: v_dual_dot2acc_f32_f16 v19, v4, v15
	v_dual_dot2acc_f32_f16 v54, v2, v86 :: v_dual_dot2acc_f32_f16 v17, v4, v13
	;; [unrolled: 1-line block ×4, first 2 shown]
	ds_load_b128 v[0:3], v82 offset:7680
	v_dual_dot2acc_f32_f16 v16, v4, v12 :: v_dual_dot2acc_f32_f16 v31, v5, v15
	v_dual_dot2acc_f32_f16 v18, v4, v14 :: v_dual_dot2acc_f32_f16 v35, v6, v15
	;; [unrolled: 1-line block ×7, first 2 shown]
	ds_load_b128 v[12:15], v83 offset:24320
	v_dual_dot2acc_f32_f16 v20, v4, v84 :: v_dual_dot2acc_f32_f16 v27, v5, v87
	v_dual_dot2acc_f32_f16 v22, v4, v86 :: v_dual_dot2acc_f32_f16 v25, v5, v84
	;; [unrolled: 1-line block ×6, first 2 shown]
	v_dot2acc_f32_f16 v50, v7, v86
	v_dot2acc_f32_f16 v53, v7, v87
	ds_load_b128 v[4:7], v82 offset:7936
	s_waitcnt lgkmcnt(2)
	v_dot2acc_f32_f16 v78, v0, v10
	v_dot2acc_f32_f16 v79, v0, v8
	v_dual_dot2acc_f32_f16 v77, v0, v9 :: v_dual_dot2acc_f32_f16 v66, v1, v10
	v_dual_dot2acc_f32_f16 v76, v0, v11 :: v_dual_dot2acc_f32_f16 v67, v1, v8
	s_waitcnt lgkmcnt(1)
	v_dual_dot2acc_f32_f16 v36, v3, v9 :: v_dual_dot2acc_f32_f16 v75, v0, v12
	v_dual_dot2acc_f32_f16 v74, v0, v13 :: v_dual_dot2acc_f32_f16 v51, v2, v15
	;; [unrolled: 1-line block ×4, first 2 shown]
	v_add_nc_u32_e32 v0, s13, v81
	v_dual_dot2acc_f32_f16 v65, v1, v9 :: v_dual_dot2acc_f32_f16 v62, v2, v8
	v_dual_dot2acc_f32_f16 v64, v1, v11 :: v_dual_dot2acc_f32_f16 v63, v2, v10
	s_waitcnt lgkmcnt(0)
	v_dot2acc_f32_f16 v41, v6, v12
	v_mul_lo_u32 v0, v0, s12
	v_dual_dot2acc_f32_f16 v60, v2, v9 :: v_dual_dot2acc_f32_f16 v37, v3, v11
	v_dual_dot2acc_f32_f16 v61, v2, v11 :: v_dual_dot2acc_f32_f16 v38, v3, v8
	;; [unrolled: 1-line block ×19, first 2 shown]
	v_cvt_f16_f32_e32 v2, v79
	v_cvt_f16_f32_e32 v1, v78
	;; [unrolled: 1-line block ×4, first 2 shown]
	v_add3_u32 v5, s7, v80, v0
	s_mov_b32 s7, 0x31004000
	v_dot2acc_f32_f16 v53, v7, v15
	v_pack_b32_f16 v1, v1, v3
	v_pack_b32_f16 v0, v2, v4
	v_lshlrev_b32_e32 v2, 1, v5
	v_add_nc_u32_e32 v4, 64, v5
	v_cvt_f16_f32_e32 v3, v72
	v_dual_dot2acc_f32_f16 v32, v6, v9 :: v_dual_dot2acc_f32_f16 v59, v7, v11
	buffer_store_b64 v[0:1], v2, s[4:7], 0 offen
	v_cvt_f16_f32_e32 v0, v75
	v_cvt_f16_f32_e32 v2, v74
	;; [unrolled: 1-line block ×3, first 2 shown]
	v_dual_dot2acc_f32_f16 v42, v6, v14 :: v_dual_dot2acc_f32_f16 v49, v7, v13
	v_dot2acc_f32_f16 v48, v7, v12
	v_dot2acc_f32_f16 v50, v7, v14
	v_cvt_f16_f32_e32 v6, v71
	v_cvt_f16_f32_e32 v7, v70
	;; [unrolled: 1-line block ×4, first 2 shown]
	v_pack_b32_f16 v1, v1, v3
	v_pack_b32_f16 v0, v0, v2
	v_lshlrev_b32_e32 v10, 1, v4
	v_pack_b32_f16 v3, v7, v8
	v_pack_b32_f16 v2, v6, v9
	v_add_lshl_u32 v4, v4, s12, 1
	v_cvt_f16_f32_e32 v7, v66
	v_cvt_f16_f32_e32 v8, v64
	s_clause 0x1
	buffer_store_b64 v[0:1], v10, s[4:7], 0 offen
	buffer_store_b64 v[2:3], v4, s[4:7], 0 offen
	v_add_nc_u32_e32 v2, s12, v5
	v_cvt_f16_f32_e32 v6, v67
	v_cvt_f16_f32_e32 v9, v65
	v_pack_b32_f16 v1, v7, v8
	v_cvt_f16_f32_e32 v3, v63
	v_cvt_f16_f32_e32 v4, v61
	v_add_nc_u32_e32 v7, s12, v2
	v_pack_b32_f16 v0, v6, v9
	v_lshlrev_b32_e32 v6, 1, v2
	v_cvt_f16_f32_e32 v2, v62
	v_cvt_f16_f32_e32 v5, v60
	v_add_nc_u32_e32 v11, 64, v7
	v_pack_b32_f16 v3, v3, v4
	v_cvt_f16_f32_e32 v4, v56
	v_cvt_f16_f32_e32 v8, v54
	;; [unrolled: 1-line block ×4, first 2 shown]
	v_pack_b32_f16 v2, v2, v5
	v_lshlrev_b32_e32 v12, 1, v7
	v_cvt_f16_f32_e32 v13, v44
	v_pack_b32_f16 v5, v8, v9
	v_pack_b32_f16 v4, v4, v10
	v_lshlrev_b32_e32 v8, 1, v11
	v_cvt_f16_f32_e32 v9, v47
	v_cvt_f16_f32_e32 v10, v46
	;; [unrolled: 1-line block ×3, first 2 shown]
	s_clause 0x2
	buffer_store_b64 v[0:1], v6, s[4:7], 0 offen
	buffer_store_b64 v[2:3], v12, s[4:7], 0 offen
	buffer_store_b64 v[4:5], v8, s[4:7], 0 offen
	v_add_nc_u32_e32 v4, s12, v7
	v_cvt_f16_f32_e32 v2, v40
	v_cvt_f16_f32_e32 v3, v37
	;; [unrolled: 1-line block ×4, first 2 shown]
	v_pack_b32_f16 v1, v10, v13
	v_pack_b32_f16 v0, v9, v14
	v_add_lshl_u32 v6, v11, s12, 1
	v_cvt_f16_f32_e32 v8, v57
	v_cvt_f16_f32_e32 v9, v58
	;; [unrolled: 1-line block ×4, first 2 shown]
	v_lshl_add_u32 v12, s12, 6, v4
	v_pack_b32_f16 v3, v2, v3
	v_pack_b32_f16 v2, v5, v7
	v_lshlrev_b32_e32 v7, 1, v4
	v_pack_b32_f16 v5, v9, v10
	v_pack_b32_f16 v4, v8, v11
	v_lshlrev_b32_e32 v8, 1, v12
	s_clause 0x1
	buffer_store_b64 v[0:1], v6, s[4:7], 0 offen
	buffer_store_b64 v[2:3], v7, s[4:7], 0 offen
	v_add_nc_u32_e32 v2, 64, v12
	v_cvt_f16_f32_e32 v0, v50
	v_cvt_f16_f32_e32 v1, v53
	buffer_store_b64 v[4:5], v8, s[4:7], 0 offen
	v_cvt_f16_f32_e32 v3, v48
	v_cvt_f16_f32_e32 v4, v49
	;; [unrolled: 1-line block ×6, first 2 shown]
	v_subrev_nc_u32_e32 v9, s12, v2
	v_pack_b32_f16 v1, v0, v1
	v_pack_b32_f16 v0, v3, v4
	v_lshlrev_b32_e32 v4, 1, v2
	v_pack_b32_f16 v3, v6, v7
	v_pack_b32_f16 v2, v5, v8
	v_lshlrev_b32_e32 v5, 1, v9
	s_clause 0x1
	buffer_store_b64 v[0:1], v4, s[4:7], 0 offen
	buffer_store_b64 v[2:3], v5, s[4:7], 0 offen
	v_subrev_nc_u32_e32 v2, 64, v9
	v_cvt_f16_f32_e32 v6, v33
	v_cvt_f16_f32_e32 v10, v32
	;; [unrolled: 1-line block ×4, first 2 shown]
	v_subrev_nc_u32_e32 v5, s12, v2
	v_cvt_f16_f32_e32 v3, v30
	v_cvt_f16_f32_e32 v4, v31
	v_pack_b32_f16 v0, v6, v10
	v_lshlrev_b32_e32 v10, 1, v2
	v_cvt_f16_f32_e32 v2, v28
	v_cvt_f16_f32_e32 v6, v29
	v_add_nc_u32_e32 v11, 64, v5
	v_pack_b32_f16 v1, v7, v8
	v_pack_b32_f16 v3, v3, v4
	v_cvt_f16_f32_e32 v4, v25
	v_cvt_f16_f32_e32 v7, v26
	v_cvt_f16_f32_e32 v8, v27
	v_cvt_f16_f32_e32 v9, v24
	v_pack_b32_f16 v2, v2, v6
	v_subrev_nc_u32_e32 v6, s12, v11
	v_lshlrev_b32_e32 v12, 1, v5
	v_pack_b32_f16 v5, v7, v8
	v_pack_b32_f16 v4, v4, v9
	v_lshlrev_b32_e32 v13, 1, v11
	v_cvt_f16_f32_e32 v8, v20
	v_cvt_f16_f32_e32 v9, v21
	;; [unrolled: 1-line block ×8, first 2 shown]
	v_lshlrev_b32_e32 v18, 1, v6
	v_pack_b32_f16 v7, v7, v11
	v_pack_b32_f16 v6, v8, v9
	;; [unrolled: 1-line block ×4, first 2 shown]
	v_add_nc_u32_e32 v11, 0xffffff80, v18
	s_clause 0x4
	buffer_store_b64 v[0:1], v10, s[4:7], 0 offen
	buffer_store_b64 v[2:3], v12, s[4:7], 0 offen
	;; [unrolled: 1-line block ×5, first 2 shown]
	s_nop 0
	s_sendmsg sendmsg(MSG_DEALLOC_VGPRS)
	s_endpgm
	.section	.rodata,"a",@progbits
	.p2align	6, 0x0
	.amdhsa_kernel _ZN2ck19kernel_gemm_dl_v1r3INS_28GridwiseGemmDl_km_kn_mn_v1r3ILi256EDF16_fDF16_LNS_25InMemoryDataOperationEnumE0ENS_16TensorDescriptorINS_5TupleIJNS_5EmbedINS4_IJiiEEENS4_IJNS_17integral_constantIiLi1EEEiEEELb0EEENS_7UnMergeINS4_IJiNS7_IiLi2EEEEEELb0EEENS_11PassThroughIiEEEEENS4_IJNS_8SequenceIJLi0EEEENSI_IJLi2EEEENSI_IJLi1EEEEEEENS4_IJNSI_IJLi1ELi2EEEENSI_IJLi3ELi4EEEENSI_IJLi5EEEEEEENSI_IJLi3ELi5ELi4EEEElEENS3_INS4_IJNS5_IS6_NS4_IJiS8_EEELb0EEESE_SG_EEENS4_IJSJ_SL_SK_EEESQ_SR_lEENS3_INS4_IJSU_SG_SG_EEESW_NS4_IJSN_NSI_IJLi3EEEENSI_IJLi4EEEEEEESO_lEELi128ELi128ELi16ELi2ELi4ELi4ELi1ENSI_IJLi8ELi2EEEES13_NSI_IJLi2ELi1ELi4ELi2EEEENSI_IJLi8ELi1ELi32ELi1EEEENSI_IJLi0ELi3ELi1ELi2EEEES16_NSI_IJLi1ELi1ELi4ELi1EEEES16_NSI_IJLi1ELi1ELi4ELi2EEEES14_S15_S16_S16_S17_S16_S18_NSI_IJLi0ELi1ELi2ELi3ELi4ELi5EEEELi5ELi4EEEDF16_DF16_NS3_INS4_IJSA_SE_SG_SG_NSB_INS4_IJiNS7_IiLi128EEEEEELb0EEENSF_ISC_EEEEENS4_IJSJ_SK_SL_SZ_SP_S10_EEENS4_IJSN_SO_SP_NSI_IJLi6EEEENSI_IJLi7ELi8EEEENSI_IJLi9EEEEEEENSI_IJLi6ELi7ELi8ELi9EEEElEENS3_INS4_IJSU_SE_SG_SG_S1D_S1E_EEENS4_IJSJ_SL_SK_SZ_SP_S10_EEES1K_S1L_lEENS3_INS4_IJSU_SG_SG_NSB_INS4_IJiSC_NS7_IiLi64EEEEEELb0EEES1S_EEENS4_IJSJ_SL_SK_SZ_S10_EEENS4_IJSN_SZ_S10_NSI_IJLi5ELi6ELi7EEEENSI_IJLi8ELi9ELi10EEEEEEENSI_IJLi5ELi6ELi7ELi8ELi9ELi10EEEElEENS_31BlockToCTileMap_M00_N00_M01_N01ILi128ELi128ES12_Lb0EEELb1ELb0EEEvPKT0_S24_PT1_T2_T3_T4_T5_
		.amdhsa_group_segment_fixed_size 32768
		.amdhsa_private_segment_fixed_size 0
		.amdhsa_kernarg_size 328
		.amdhsa_user_sgpr_count 15
		.amdhsa_user_sgpr_dispatch_ptr 0
		.amdhsa_user_sgpr_queue_ptr 0
		.amdhsa_user_sgpr_kernarg_segment_ptr 1
		.amdhsa_user_sgpr_dispatch_id 0
		.amdhsa_user_sgpr_private_segment_size 0
		.amdhsa_wavefront_size32 1
		.amdhsa_uses_dynamic_stack 0
		.amdhsa_enable_private_segment 0
		.amdhsa_system_sgpr_workgroup_id_x 1
		.amdhsa_system_sgpr_workgroup_id_y 0
		.amdhsa_system_sgpr_workgroup_id_z 0
		.amdhsa_system_sgpr_workgroup_info 0
		.amdhsa_system_vgpr_workitem_id 0
		.amdhsa_next_free_vgpr 198
		.amdhsa_next_free_sgpr 37
		.amdhsa_reserve_vcc 0
		.amdhsa_float_round_mode_32 0
		.amdhsa_float_round_mode_16_64 0
		.amdhsa_float_denorm_mode_32 3
		.amdhsa_float_denorm_mode_16_64 3
		.amdhsa_dx10_clamp 1
		.amdhsa_ieee_mode 1
		.amdhsa_fp16_overflow 0
		.amdhsa_workgroup_processor_mode 1
		.amdhsa_memory_ordered 1
		.amdhsa_forward_progress 0
		.amdhsa_shared_vgpr_count 0
		.amdhsa_exception_fp_ieee_invalid_op 0
		.amdhsa_exception_fp_denorm_src 0
		.amdhsa_exception_fp_ieee_div_zero 0
		.amdhsa_exception_fp_ieee_overflow 0
		.amdhsa_exception_fp_ieee_underflow 0
		.amdhsa_exception_fp_ieee_inexact 0
		.amdhsa_exception_int_div_zero 0
	.end_amdhsa_kernel
	.section	.text._ZN2ck19kernel_gemm_dl_v1r3INS_28GridwiseGemmDl_km_kn_mn_v1r3ILi256EDF16_fDF16_LNS_25InMemoryDataOperationEnumE0ENS_16TensorDescriptorINS_5TupleIJNS_5EmbedINS4_IJiiEEENS4_IJNS_17integral_constantIiLi1EEEiEEELb0EEENS_7UnMergeINS4_IJiNS7_IiLi2EEEEEELb0EEENS_11PassThroughIiEEEEENS4_IJNS_8SequenceIJLi0EEEENSI_IJLi2EEEENSI_IJLi1EEEEEEENS4_IJNSI_IJLi1ELi2EEEENSI_IJLi3ELi4EEEENSI_IJLi5EEEEEEENSI_IJLi3ELi5ELi4EEEElEENS3_INS4_IJNS5_IS6_NS4_IJiS8_EEELb0EEESE_SG_EEENS4_IJSJ_SL_SK_EEESQ_SR_lEENS3_INS4_IJSU_SG_SG_EEESW_NS4_IJSN_NSI_IJLi3EEEENSI_IJLi4EEEEEEESO_lEELi128ELi128ELi16ELi2ELi4ELi4ELi1ENSI_IJLi8ELi2EEEES13_NSI_IJLi2ELi1ELi4ELi2EEEENSI_IJLi8ELi1ELi32ELi1EEEENSI_IJLi0ELi3ELi1ELi2EEEES16_NSI_IJLi1ELi1ELi4ELi1EEEES16_NSI_IJLi1ELi1ELi4ELi2EEEES14_S15_S16_S16_S17_S16_S18_NSI_IJLi0ELi1ELi2ELi3ELi4ELi5EEEELi5ELi4EEEDF16_DF16_NS3_INS4_IJSA_SE_SG_SG_NSB_INS4_IJiNS7_IiLi128EEEEEELb0EEENSF_ISC_EEEEENS4_IJSJ_SK_SL_SZ_SP_S10_EEENS4_IJSN_SO_SP_NSI_IJLi6EEEENSI_IJLi7ELi8EEEENSI_IJLi9EEEEEEENSI_IJLi6ELi7ELi8ELi9EEEElEENS3_INS4_IJSU_SE_SG_SG_S1D_S1E_EEENS4_IJSJ_SL_SK_SZ_SP_S10_EEES1K_S1L_lEENS3_INS4_IJSU_SG_SG_NSB_INS4_IJiSC_NS7_IiLi64EEEEEELb0EEES1S_EEENS4_IJSJ_SL_SK_SZ_S10_EEENS4_IJSN_SZ_S10_NSI_IJLi5ELi6ELi7EEEENSI_IJLi8ELi9ELi10EEEEEEENSI_IJLi5ELi6ELi7ELi8ELi9ELi10EEEElEENS_31BlockToCTileMap_M00_N00_M01_N01ILi128ELi128ES12_Lb0EEELb1ELb0EEEvPKT0_S24_PT1_T2_T3_T4_T5_,"axG",@progbits,_ZN2ck19kernel_gemm_dl_v1r3INS_28GridwiseGemmDl_km_kn_mn_v1r3ILi256EDF16_fDF16_LNS_25InMemoryDataOperationEnumE0ENS_16TensorDescriptorINS_5TupleIJNS_5EmbedINS4_IJiiEEENS4_IJNS_17integral_constantIiLi1EEEiEEELb0EEENS_7UnMergeINS4_IJiNS7_IiLi2EEEEEELb0EEENS_11PassThroughIiEEEEENS4_IJNS_8SequenceIJLi0EEEENSI_IJLi2EEEENSI_IJLi1EEEEEEENS4_IJNSI_IJLi1ELi2EEEENSI_IJLi3ELi4EEEENSI_IJLi5EEEEEEENSI_IJLi3ELi5ELi4EEEElEENS3_INS4_IJNS5_IS6_NS4_IJiS8_EEELb0EEESE_SG_EEENS4_IJSJ_SL_SK_EEESQ_SR_lEENS3_INS4_IJSU_SG_SG_EEESW_NS4_IJSN_NSI_IJLi3EEEENSI_IJLi4EEEEEEESO_lEELi128ELi128ELi16ELi2ELi4ELi4ELi1ENSI_IJLi8ELi2EEEES13_NSI_IJLi2ELi1ELi4ELi2EEEENSI_IJLi8ELi1ELi32ELi1EEEENSI_IJLi0ELi3ELi1ELi2EEEES16_NSI_IJLi1ELi1ELi4ELi1EEEES16_NSI_IJLi1ELi1ELi4ELi2EEEES14_S15_S16_S16_S17_S16_S18_NSI_IJLi0ELi1ELi2ELi3ELi4ELi5EEEELi5ELi4EEEDF16_DF16_NS3_INS4_IJSA_SE_SG_SG_NSB_INS4_IJiNS7_IiLi128EEEEEELb0EEENSF_ISC_EEEEENS4_IJSJ_SK_SL_SZ_SP_S10_EEENS4_IJSN_SO_SP_NSI_IJLi6EEEENSI_IJLi7ELi8EEEENSI_IJLi9EEEEEEENSI_IJLi6ELi7ELi8ELi9EEEElEENS3_INS4_IJSU_SE_SG_SG_S1D_S1E_EEENS4_IJSJ_SL_SK_SZ_SP_S10_EEES1K_S1L_lEENS3_INS4_IJSU_SG_SG_NSB_INS4_IJiSC_NS7_IiLi64EEEEEELb0EEES1S_EEENS4_IJSJ_SL_SK_SZ_S10_EEENS4_IJSN_SZ_S10_NSI_IJLi5ELi6ELi7EEEENSI_IJLi8ELi9ELi10EEEEEEENSI_IJLi5ELi6ELi7ELi8ELi9ELi10EEEElEENS_31BlockToCTileMap_M00_N00_M01_N01ILi128ELi128ES12_Lb0EEELb1ELb0EEEvPKT0_S24_PT1_T2_T3_T4_T5_,comdat
.Lfunc_end2:
	.size	_ZN2ck19kernel_gemm_dl_v1r3INS_28GridwiseGemmDl_km_kn_mn_v1r3ILi256EDF16_fDF16_LNS_25InMemoryDataOperationEnumE0ENS_16TensorDescriptorINS_5TupleIJNS_5EmbedINS4_IJiiEEENS4_IJNS_17integral_constantIiLi1EEEiEEELb0EEENS_7UnMergeINS4_IJiNS7_IiLi2EEEEEELb0EEENS_11PassThroughIiEEEEENS4_IJNS_8SequenceIJLi0EEEENSI_IJLi2EEEENSI_IJLi1EEEEEEENS4_IJNSI_IJLi1ELi2EEEENSI_IJLi3ELi4EEEENSI_IJLi5EEEEEEENSI_IJLi3ELi5ELi4EEEElEENS3_INS4_IJNS5_IS6_NS4_IJiS8_EEELb0EEESE_SG_EEENS4_IJSJ_SL_SK_EEESQ_SR_lEENS3_INS4_IJSU_SG_SG_EEESW_NS4_IJSN_NSI_IJLi3EEEENSI_IJLi4EEEEEEESO_lEELi128ELi128ELi16ELi2ELi4ELi4ELi1ENSI_IJLi8ELi2EEEES13_NSI_IJLi2ELi1ELi4ELi2EEEENSI_IJLi8ELi1ELi32ELi1EEEENSI_IJLi0ELi3ELi1ELi2EEEES16_NSI_IJLi1ELi1ELi4ELi1EEEES16_NSI_IJLi1ELi1ELi4ELi2EEEES14_S15_S16_S16_S17_S16_S18_NSI_IJLi0ELi1ELi2ELi3ELi4ELi5EEEELi5ELi4EEEDF16_DF16_NS3_INS4_IJSA_SE_SG_SG_NSB_INS4_IJiNS7_IiLi128EEEEEELb0EEENSF_ISC_EEEEENS4_IJSJ_SK_SL_SZ_SP_S10_EEENS4_IJSN_SO_SP_NSI_IJLi6EEEENSI_IJLi7ELi8EEEENSI_IJLi9EEEEEEENSI_IJLi6ELi7ELi8ELi9EEEElEENS3_INS4_IJSU_SE_SG_SG_S1D_S1E_EEENS4_IJSJ_SL_SK_SZ_SP_S10_EEES1K_S1L_lEENS3_INS4_IJSU_SG_SG_NSB_INS4_IJiSC_NS7_IiLi64EEEEEELb0EEES1S_EEENS4_IJSJ_SL_SK_SZ_S10_EEENS4_IJSN_SZ_S10_NSI_IJLi5ELi6ELi7EEEENSI_IJLi8ELi9ELi10EEEEEEENSI_IJLi5ELi6ELi7ELi8ELi9ELi10EEEElEENS_31BlockToCTileMap_M00_N00_M01_N01ILi128ELi128ES12_Lb0EEELb1ELb0EEEvPKT0_S24_PT1_T2_T3_T4_T5_, .Lfunc_end2-_ZN2ck19kernel_gemm_dl_v1r3INS_28GridwiseGemmDl_km_kn_mn_v1r3ILi256EDF16_fDF16_LNS_25InMemoryDataOperationEnumE0ENS_16TensorDescriptorINS_5TupleIJNS_5EmbedINS4_IJiiEEENS4_IJNS_17integral_constantIiLi1EEEiEEELb0EEENS_7UnMergeINS4_IJiNS7_IiLi2EEEEEELb0EEENS_11PassThroughIiEEEEENS4_IJNS_8SequenceIJLi0EEEENSI_IJLi2EEEENSI_IJLi1EEEEEEENS4_IJNSI_IJLi1ELi2EEEENSI_IJLi3ELi4EEEENSI_IJLi5EEEEEEENSI_IJLi3ELi5ELi4EEEElEENS3_INS4_IJNS5_IS6_NS4_IJiS8_EEELb0EEESE_SG_EEENS4_IJSJ_SL_SK_EEESQ_SR_lEENS3_INS4_IJSU_SG_SG_EEESW_NS4_IJSN_NSI_IJLi3EEEENSI_IJLi4EEEEEEESO_lEELi128ELi128ELi16ELi2ELi4ELi4ELi1ENSI_IJLi8ELi2EEEES13_NSI_IJLi2ELi1ELi4ELi2EEEENSI_IJLi8ELi1ELi32ELi1EEEENSI_IJLi0ELi3ELi1ELi2EEEES16_NSI_IJLi1ELi1ELi4ELi1EEEES16_NSI_IJLi1ELi1ELi4ELi2EEEES14_S15_S16_S16_S17_S16_S18_NSI_IJLi0ELi1ELi2ELi3ELi4ELi5EEEELi5ELi4EEEDF16_DF16_NS3_INS4_IJSA_SE_SG_SG_NSB_INS4_IJiNS7_IiLi128EEEEEELb0EEENSF_ISC_EEEEENS4_IJSJ_SK_SL_SZ_SP_S10_EEENS4_IJSN_SO_SP_NSI_IJLi6EEEENSI_IJLi7ELi8EEEENSI_IJLi9EEEEEEENSI_IJLi6ELi7ELi8ELi9EEEElEENS3_INS4_IJSU_SE_SG_SG_S1D_S1E_EEENS4_IJSJ_SL_SK_SZ_SP_S10_EEES1K_S1L_lEENS3_INS4_IJSU_SG_SG_NSB_INS4_IJiSC_NS7_IiLi64EEEEEELb0EEES1S_EEENS4_IJSJ_SL_SK_SZ_S10_EEENS4_IJSN_SZ_S10_NSI_IJLi5ELi6ELi7EEEENSI_IJLi8ELi9ELi10EEEEEEENSI_IJLi5ELi6ELi7ELi8ELi9ELi10EEEElEENS_31BlockToCTileMap_M00_N00_M01_N01ILi128ELi128ES12_Lb0EEELb1ELb0EEEvPKT0_S24_PT1_T2_T3_T4_T5_
                                        ; -- End function
	.section	.AMDGPU.csdata,"",@progbits
; Kernel info:
; codeLenInByte = 17160
; NumSgprs: 37
; NumVgprs: 198
; ScratchSize: 0
; MemoryBound: 0
; FloatMode: 240
; IeeeMode: 1
; LDSByteSize: 32768 bytes/workgroup (compile time only)
; SGPRBlocks: 4
; VGPRBlocks: 24
; NumSGPRsForWavesPerEU: 37
; NumVGPRsForWavesPerEU: 198
; Occupancy: 7
; WaveLimiterHint : 0
; COMPUTE_PGM_RSRC2:SCRATCH_EN: 0
; COMPUTE_PGM_RSRC2:USER_SGPR: 15
; COMPUTE_PGM_RSRC2:TRAP_HANDLER: 0
; COMPUTE_PGM_RSRC2:TGID_X_EN: 1
; COMPUTE_PGM_RSRC2:TGID_Y_EN: 0
; COMPUTE_PGM_RSRC2:TGID_Z_EN: 0
; COMPUTE_PGM_RSRC2:TIDIG_COMP_CNT: 0
	.section	.text._ZN2ck19kernel_gemm_dl_v1r3INS_28GridwiseGemmDl_km_kn_mn_v1r3ILi256EDF16_fDF16_LNS_25InMemoryDataOperationEnumE0ENS_16TensorDescriptorINS_5TupleIJNS_5EmbedINS4_IJiiEEENS4_IJNS_17integral_constantIiLi1EEEiEEELb0EEENS_7UnMergeINS4_IJiNS7_IiLi2EEEEEELb0EEENS_11PassThroughIiEEEEENS4_IJNS_8SequenceIJLi0EEEENSI_IJLi2EEEENSI_IJLi1EEEEEEENS4_IJNSI_IJLi1ELi2EEEENSI_IJLi3ELi4EEEENSI_IJLi5EEEEEEENSI_IJLi3ELi5ELi4EEEElEENS3_INS4_IJNS5_IS6_NS4_IJiS8_EEELb0EEESE_SG_EEENS4_IJSJ_SL_SK_EEESQ_SR_lEENS3_INS4_IJSU_SG_SG_EEESW_NS4_IJSN_NSI_IJLi3EEEENSI_IJLi4EEEEEEESO_lEELi128ELi128ELi16ELi2ELi4ELi4ELi1ENSI_IJLi8ELi2EEEES13_NSI_IJLi2ELi1ELi4ELi2EEEENSI_IJLi8ELi1ELi32ELi1EEEENSI_IJLi0ELi3ELi1ELi2EEEES16_NSI_IJLi1ELi1ELi4ELi1EEEES16_NSI_IJLi1ELi1ELi4ELi2EEEES14_S15_S16_S16_S17_S16_S18_NSI_IJLi0ELi1ELi2ELi3ELi4ELi5EEEELi5ELi4EEEDF16_DF16_NS3_INS4_IJSA_SE_SG_SG_NSB_INS4_IJiNS7_IiLi128EEEEEELb0EEENSF_ISC_EEEEENS4_IJSJ_SK_SL_SZ_SP_S10_EEENS4_IJSN_SO_SP_NSI_IJLi6EEEENSI_IJLi7ELi8EEEENSI_IJLi9EEEEEEENSI_IJLi6ELi7ELi8ELi9EEEElEENS3_INS4_IJSU_SE_SG_SG_S1D_S1E_EEENS4_IJSJ_SL_SK_SZ_SP_S10_EEES1K_S1L_lEENS3_INS4_IJSU_SG_SG_NSB_INS4_IJiSC_NS7_IiLi64EEEEEELb0EEES1S_EEENS4_IJSJ_SL_SK_SZ_S10_EEENS4_IJSN_SZ_S10_NSI_IJLi5ELi6ELi7EEEENSI_IJLi8ELi9ELi10EEEEEEENSI_IJLi5ELi6ELi7ELi8ELi9ELi10EEEElEENS_31BlockToCTileMap_M00_N00_M01_N01ILi128ELi128ES12_Lb0EEELb0ELb1EEEvPKT0_S24_PT1_T2_T3_T4_T5_,"axG",@progbits,_ZN2ck19kernel_gemm_dl_v1r3INS_28GridwiseGemmDl_km_kn_mn_v1r3ILi256EDF16_fDF16_LNS_25InMemoryDataOperationEnumE0ENS_16TensorDescriptorINS_5TupleIJNS_5EmbedINS4_IJiiEEENS4_IJNS_17integral_constantIiLi1EEEiEEELb0EEENS_7UnMergeINS4_IJiNS7_IiLi2EEEEEELb0EEENS_11PassThroughIiEEEEENS4_IJNS_8SequenceIJLi0EEEENSI_IJLi2EEEENSI_IJLi1EEEEEEENS4_IJNSI_IJLi1ELi2EEEENSI_IJLi3ELi4EEEENSI_IJLi5EEEEEEENSI_IJLi3ELi5ELi4EEEElEENS3_INS4_IJNS5_IS6_NS4_IJiS8_EEELb0EEESE_SG_EEENS4_IJSJ_SL_SK_EEESQ_SR_lEENS3_INS4_IJSU_SG_SG_EEESW_NS4_IJSN_NSI_IJLi3EEEENSI_IJLi4EEEEEEESO_lEELi128ELi128ELi16ELi2ELi4ELi4ELi1ENSI_IJLi8ELi2EEEES13_NSI_IJLi2ELi1ELi4ELi2EEEENSI_IJLi8ELi1ELi32ELi1EEEENSI_IJLi0ELi3ELi1ELi2EEEES16_NSI_IJLi1ELi1ELi4ELi1EEEES16_NSI_IJLi1ELi1ELi4ELi2EEEES14_S15_S16_S16_S17_S16_S18_NSI_IJLi0ELi1ELi2ELi3ELi4ELi5EEEELi5ELi4EEEDF16_DF16_NS3_INS4_IJSA_SE_SG_SG_NSB_INS4_IJiNS7_IiLi128EEEEEELb0EEENSF_ISC_EEEEENS4_IJSJ_SK_SL_SZ_SP_S10_EEENS4_IJSN_SO_SP_NSI_IJLi6EEEENSI_IJLi7ELi8EEEENSI_IJLi9EEEEEEENSI_IJLi6ELi7ELi8ELi9EEEElEENS3_INS4_IJSU_SE_SG_SG_S1D_S1E_EEENS4_IJSJ_SL_SK_SZ_SP_S10_EEES1K_S1L_lEENS3_INS4_IJSU_SG_SG_NSB_INS4_IJiSC_NS7_IiLi64EEEEEELb0EEES1S_EEENS4_IJSJ_SL_SK_SZ_S10_EEENS4_IJSN_SZ_S10_NSI_IJLi5ELi6ELi7EEEENSI_IJLi8ELi9ELi10EEEEEEENSI_IJLi5ELi6ELi7ELi8ELi9ELi10EEEElEENS_31BlockToCTileMap_M00_N00_M01_N01ILi128ELi128ES12_Lb0EEELb0ELb1EEEvPKT0_S24_PT1_T2_T3_T4_T5_,comdat
	.protected	_ZN2ck19kernel_gemm_dl_v1r3INS_28GridwiseGemmDl_km_kn_mn_v1r3ILi256EDF16_fDF16_LNS_25InMemoryDataOperationEnumE0ENS_16TensorDescriptorINS_5TupleIJNS_5EmbedINS4_IJiiEEENS4_IJNS_17integral_constantIiLi1EEEiEEELb0EEENS_7UnMergeINS4_IJiNS7_IiLi2EEEEEELb0EEENS_11PassThroughIiEEEEENS4_IJNS_8SequenceIJLi0EEEENSI_IJLi2EEEENSI_IJLi1EEEEEEENS4_IJNSI_IJLi1ELi2EEEENSI_IJLi3ELi4EEEENSI_IJLi5EEEEEEENSI_IJLi3ELi5ELi4EEEElEENS3_INS4_IJNS5_IS6_NS4_IJiS8_EEELb0EEESE_SG_EEENS4_IJSJ_SL_SK_EEESQ_SR_lEENS3_INS4_IJSU_SG_SG_EEESW_NS4_IJSN_NSI_IJLi3EEEENSI_IJLi4EEEEEEESO_lEELi128ELi128ELi16ELi2ELi4ELi4ELi1ENSI_IJLi8ELi2EEEES13_NSI_IJLi2ELi1ELi4ELi2EEEENSI_IJLi8ELi1ELi32ELi1EEEENSI_IJLi0ELi3ELi1ELi2EEEES16_NSI_IJLi1ELi1ELi4ELi1EEEES16_NSI_IJLi1ELi1ELi4ELi2EEEES14_S15_S16_S16_S17_S16_S18_NSI_IJLi0ELi1ELi2ELi3ELi4ELi5EEEELi5ELi4EEEDF16_DF16_NS3_INS4_IJSA_SE_SG_SG_NSB_INS4_IJiNS7_IiLi128EEEEEELb0EEENSF_ISC_EEEEENS4_IJSJ_SK_SL_SZ_SP_S10_EEENS4_IJSN_SO_SP_NSI_IJLi6EEEENSI_IJLi7ELi8EEEENSI_IJLi9EEEEEEENSI_IJLi6ELi7ELi8ELi9EEEElEENS3_INS4_IJSU_SE_SG_SG_S1D_S1E_EEENS4_IJSJ_SL_SK_SZ_SP_S10_EEES1K_S1L_lEENS3_INS4_IJSU_SG_SG_NSB_INS4_IJiSC_NS7_IiLi64EEEEEELb0EEES1S_EEENS4_IJSJ_SL_SK_SZ_S10_EEENS4_IJSN_SZ_S10_NSI_IJLi5ELi6ELi7EEEENSI_IJLi8ELi9ELi10EEEEEEENSI_IJLi5ELi6ELi7ELi8ELi9ELi10EEEElEENS_31BlockToCTileMap_M00_N00_M01_N01ILi128ELi128ES12_Lb0EEELb0ELb1EEEvPKT0_S24_PT1_T2_T3_T4_T5_ ; -- Begin function _ZN2ck19kernel_gemm_dl_v1r3INS_28GridwiseGemmDl_km_kn_mn_v1r3ILi256EDF16_fDF16_LNS_25InMemoryDataOperationEnumE0ENS_16TensorDescriptorINS_5TupleIJNS_5EmbedINS4_IJiiEEENS4_IJNS_17integral_constantIiLi1EEEiEEELb0EEENS_7UnMergeINS4_IJiNS7_IiLi2EEEEEELb0EEENS_11PassThroughIiEEEEENS4_IJNS_8SequenceIJLi0EEEENSI_IJLi2EEEENSI_IJLi1EEEEEEENS4_IJNSI_IJLi1ELi2EEEENSI_IJLi3ELi4EEEENSI_IJLi5EEEEEEENSI_IJLi3ELi5ELi4EEEElEENS3_INS4_IJNS5_IS6_NS4_IJiS8_EEELb0EEESE_SG_EEENS4_IJSJ_SL_SK_EEESQ_SR_lEENS3_INS4_IJSU_SG_SG_EEESW_NS4_IJSN_NSI_IJLi3EEEENSI_IJLi4EEEEEEESO_lEELi128ELi128ELi16ELi2ELi4ELi4ELi1ENSI_IJLi8ELi2EEEES13_NSI_IJLi2ELi1ELi4ELi2EEEENSI_IJLi8ELi1ELi32ELi1EEEENSI_IJLi0ELi3ELi1ELi2EEEES16_NSI_IJLi1ELi1ELi4ELi1EEEES16_NSI_IJLi1ELi1ELi4ELi2EEEES14_S15_S16_S16_S17_S16_S18_NSI_IJLi0ELi1ELi2ELi3ELi4ELi5EEEELi5ELi4EEEDF16_DF16_NS3_INS4_IJSA_SE_SG_SG_NSB_INS4_IJiNS7_IiLi128EEEEEELb0EEENSF_ISC_EEEEENS4_IJSJ_SK_SL_SZ_SP_S10_EEENS4_IJSN_SO_SP_NSI_IJLi6EEEENSI_IJLi7ELi8EEEENSI_IJLi9EEEEEEENSI_IJLi6ELi7ELi8ELi9EEEElEENS3_INS4_IJSU_SE_SG_SG_S1D_S1E_EEENS4_IJSJ_SL_SK_SZ_SP_S10_EEES1K_S1L_lEENS3_INS4_IJSU_SG_SG_NSB_INS4_IJiSC_NS7_IiLi64EEEEEELb0EEES1S_EEENS4_IJSJ_SL_SK_SZ_S10_EEENS4_IJSN_SZ_S10_NSI_IJLi5ELi6ELi7EEEENSI_IJLi8ELi9ELi10EEEEEEENSI_IJLi5ELi6ELi7ELi8ELi9ELi10EEEElEENS_31BlockToCTileMap_M00_N00_M01_N01ILi128ELi128ES12_Lb0EEELb0ELb1EEEvPKT0_S24_PT1_T2_T3_T4_T5_
	.globl	_ZN2ck19kernel_gemm_dl_v1r3INS_28GridwiseGemmDl_km_kn_mn_v1r3ILi256EDF16_fDF16_LNS_25InMemoryDataOperationEnumE0ENS_16TensorDescriptorINS_5TupleIJNS_5EmbedINS4_IJiiEEENS4_IJNS_17integral_constantIiLi1EEEiEEELb0EEENS_7UnMergeINS4_IJiNS7_IiLi2EEEEEELb0EEENS_11PassThroughIiEEEEENS4_IJNS_8SequenceIJLi0EEEENSI_IJLi2EEEENSI_IJLi1EEEEEEENS4_IJNSI_IJLi1ELi2EEEENSI_IJLi3ELi4EEEENSI_IJLi5EEEEEEENSI_IJLi3ELi5ELi4EEEElEENS3_INS4_IJNS5_IS6_NS4_IJiS8_EEELb0EEESE_SG_EEENS4_IJSJ_SL_SK_EEESQ_SR_lEENS3_INS4_IJSU_SG_SG_EEESW_NS4_IJSN_NSI_IJLi3EEEENSI_IJLi4EEEEEEESO_lEELi128ELi128ELi16ELi2ELi4ELi4ELi1ENSI_IJLi8ELi2EEEES13_NSI_IJLi2ELi1ELi4ELi2EEEENSI_IJLi8ELi1ELi32ELi1EEEENSI_IJLi0ELi3ELi1ELi2EEEES16_NSI_IJLi1ELi1ELi4ELi1EEEES16_NSI_IJLi1ELi1ELi4ELi2EEEES14_S15_S16_S16_S17_S16_S18_NSI_IJLi0ELi1ELi2ELi3ELi4ELi5EEEELi5ELi4EEEDF16_DF16_NS3_INS4_IJSA_SE_SG_SG_NSB_INS4_IJiNS7_IiLi128EEEEEELb0EEENSF_ISC_EEEEENS4_IJSJ_SK_SL_SZ_SP_S10_EEENS4_IJSN_SO_SP_NSI_IJLi6EEEENSI_IJLi7ELi8EEEENSI_IJLi9EEEEEEENSI_IJLi6ELi7ELi8ELi9EEEElEENS3_INS4_IJSU_SE_SG_SG_S1D_S1E_EEENS4_IJSJ_SL_SK_SZ_SP_S10_EEES1K_S1L_lEENS3_INS4_IJSU_SG_SG_NSB_INS4_IJiSC_NS7_IiLi64EEEEEELb0EEES1S_EEENS4_IJSJ_SL_SK_SZ_S10_EEENS4_IJSN_SZ_S10_NSI_IJLi5ELi6ELi7EEEENSI_IJLi8ELi9ELi10EEEEEEENSI_IJLi5ELi6ELi7ELi8ELi9ELi10EEEElEENS_31BlockToCTileMap_M00_N00_M01_N01ILi128ELi128ES12_Lb0EEELb0ELb1EEEvPKT0_S24_PT1_T2_T3_T4_T5_
	.p2align	8
	.type	_ZN2ck19kernel_gemm_dl_v1r3INS_28GridwiseGemmDl_km_kn_mn_v1r3ILi256EDF16_fDF16_LNS_25InMemoryDataOperationEnumE0ENS_16TensorDescriptorINS_5TupleIJNS_5EmbedINS4_IJiiEEENS4_IJNS_17integral_constantIiLi1EEEiEEELb0EEENS_7UnMergeINS4_IJiNS7_IiLi2EEEEEELb0EEENS_11PassThroughIiEEEEENS4_IJNS_8SequenceIJLi0EEEENSI_IJLi2EEEENSI_IJLi1EEEEEEENS4_IJNSI_IJLi1ELi2EEEENSI_IJLi3ELi4EEEENSI_IJLi5EEEEEEENSI_IJLi3ELi5ELi4EEEElEENS3_INS4_IJNS5_IS6_NS4_IJiS8_EEELb0EEESE_SG_EEENS4_IJSJ_SL_SK_EEESQ_SR_lEENS3_INS4_IJSU_SG_SG_EEESW_NS4_IJSN_NSI_IJLi3EEEENSI_IJLi4EEEEEEESO_lEELi128ELi128ELi16ELi2ELi4ELi4ELi1ENSI_IJLi8ELi2EEEES13_NSI_IJLi2ELi1ELi4ELi2EEEENSI_IJLi8ELi1ELi32ELi1EEEENSI_IJLi0ELi3ELi1ELi2EEEES16_NSI_IJLi1ELi1ELi4ELi1EEEES16_NSI_IJLi1ELi1ELi4ELi2EEEES14_S15_S16_S16_S17_S16_S18_NSI_IJLi0ELi1ELi2ELi3ELi4ELi5EEEELi5ELi4EEEDF16_DF16_NS3_INS4_IJSA_SE_SG_SG_NSB_INS4_IJiNS7_IiLi128EEEEEELb0EEENSF_ISC_EEEEENS4_IJSJ_SK_SL_SZ_SP_S10_EEENS4_IJSN_SO_SP_NSI_IJLi6EEEENSI_IJLi7ELi8EEEENSI_IJLi9EEEEEEENSI_IJLi6ELi7ELi8ELi9EEEElEENS3_INS4_IJSU_SE_SG_SG_S1D_S1E_EEENS4_IJSJ_SL_SK_SZ_SP_S10_EEES1K_S1L_lEENS3_INS4_IJSU_SG_SG_NSB_INS4_IJiSC_NS7_IiLi64EEEEEELb0EEES1S_EEENS4_IJSJ_SL_SK_SZ_S10_EEENS4_IJSN_SZ_S10_NSI_IJLi5ELi6ELi7EEEENSI_IJLi8ELi9ELi10EEEEEEENSI_IJLi5ELi6ELi7ELi8ELi9ELi10EEEElEENS_31BlockToCTileMap_M00_N00_M01_N01ILi128ELi128ES12_Lb0EEELb0ELb1EEEvPKT0_S24_PT1_T2_T3_T4_T5_,@function
_ZN2ck19kernel_gemm_dl_v1r3INS_28GridwiseGemmDl_km_kn_mn_v1r3ILi256EDF16_fDF16_LNS_25InMemoryDataOperationEnumE0ENS_16TensorDescriptorINS_5TupleIJNS_5EmbedINS4_IJiiEEENS4_IJNS_17integral_constantIiLi1EEEiEEELb0EEENS_7UnMergeINS4_IJiNS7_IiLi2EEEEEELb0EEENS_11PassThroughIiEEEEENS4_IJNS_8SequenceIJLi0EEEENSI_IJLi2EEEENSI_IJLi1EEEEEEENS4_IJNSI_IJLi1ELi2EEEENSI_IJLi3ELi4EEEENSI_IJLi5EEEEEEENSI_IJLi3ELi5ELi4EEEElEENS3_INS4_IJNS5_IS6_NS4_IJiS8_EEELb0EEESE_SG_EEENS4_IJSJ_SL_SK_EEESQ_SR_lEENS3_INS4_IJSU_SG_SG_EEESW_NS4_IJSN_NSI_IJLi3EEEENSI_IJLi4EEEEEEESO_lEELi128ELi128ELi16ELi2ELi4ELi4ELi1ENSI_IJLi8ELi2EEEES13_NSI_IJLi2ELi1ELi4ELi2EEEENSI_IJLi8ELi1ELi32ELi1EEEENSI_IJLi0ELi3ELi1ELi2EEEES16_NSI_IJLi1ELi1ELi4ELi1EEEES16_NSI_IJLi1ELi1ELi4ELi2EEEES14_S15_S16_S16_S17_S16_S18_NSI_IJLi0ELi1ELi2ELi3ELi4ELi5EEEELi5ELi4EEEDF16_DF16_NS3_INS4_IJSA_SE_SG_SG_NSB_INS4_IJiNS7_IiLi128EEEEEELb0EEENSF_ISC_EEEEENS4_IJSJ_SK_SL_SZ_SP_S10_EEENS4_IJSN_SO_SP_NSI_IJLi6EEEENSI_IJLi7ELi8EEEENSI_IJLi9EEEEEEENSI_IJLi6ELi7ELi8ELi9EEEElEENS3_INS4_IJSU_SE_SG_SG_S1D_S1E_EEENS4_IJSJ_SL_SK_SZ_SP_S10_EEES1K_S1L_lEENS3_INS4_IJSU_SG_SG_NSB_INS4_IJiSC_NS7_IiLi64EEEEEELb0EEES1S_EEENS4_IJSJ_SL_SK_SZ_S10_EEENS4_IJSN_SZ_S10_NSI_IJLi5ELi6ELi7EEEENSI_IJLi8ELi9ELi10EEEEEEENSI_IJLi5ELi6ELi7ELi8ELi9ELi10EEEElEENS_31BlockToCTileMap_M00_N00_M01_N01ILi128ELi128ES12_Lb0EEELb0ELb1EEEvPKT0_S24_PT1_T2_T3_T4_T5_: ; @_ZN2ck19kernel_gemm_dl_v1r3INS_28GridwiseGemmDl_km_kn_mn_v1r3ILi256EDF16_fDF16_LNS_25InMemoryDataOperationEnumE0ENS_16TensorDescriptorINS_5TupleIJNS_5EmbedINS4_IJiiEEENS4_IJNS_17integral_constantIiLi1EEEiEEELb0EEENS_7UnMergeINS4_IJiNS7_IiLi2EEEEEELb0EEENS_11PassThroughIiEEEEENS4_IJNS_8SequenceIJLi0EEEENSI_IJLi2EEEENSI_IJLi1EEEEEEENS4_IJNSI_IJLi1ELi2EEEENSI_IJLi3ELi4EEEENSI_IJLi5EEEEEEENSI_IJLi3ELi5ELi4EEEElEENS3_INS4_IJNS5_IS6_NS4_IJiS8_EEELb0EEESE_SG_EEENS4_IJSJ_SL_SK_EEESQ_SR_lEENS3_INS4_IJSU_SG_SG_EEESW_NS4_IJSN_NSI_IJLi3EEEENSI_IJLi4EEEEEEESO_lEELi128ELi128ELi16ELi2ELi4ELi4ELi1ENSI_IJLi8ELi2EEEES13_NSI_IJLi2ELi1ELi4ELi2EEEENSI_IJLi8ELi1ELi32ELi1EEEENSI_IJLi0ELi3ELi1ELi2EEEES16_NSI_IJLi1ELi1ELi4ELi1EEEES16_NSI_IJLi1ELi1ELi4ELi2EEEES14_S15_S16_S16_S17_S16_S18_NSI_IJLi0ELi1ELi2ELi3ELi4ELi5EEEELi5ELi4EEEDF16_DF16_NS3_INS4_IJSA_SE_SG_SG_NSB_INS4_IJiNS7_IiLi128EEEEEELb0EEENSF_ISC_EEEEENS4_IJSJ_SK_SL_SZ_SP_S10_EEENS4_IJSN_SO_SP_NSI_IJLi6EEEENSI_IJLi7ELi8EEEENSI_IJLi9EEEEEEENSI_IJLi6ELi7ELi8ELi9EEEElEENS3_INS4_IJSU_SE_SG_SG_S1D_S1E_EEENS4_IJSJ_SL_SK_SZ_SP_S10_EEES1K_S1L_lEENS3_INS4_IJSU_SG_SG_NSB_INS4_IJiSC_NS7_IiLi64EEEEEELb0EEES1S_EEENS4_IJSJ_SL_SK_SZ_S10_EEENS4_IJSN_SZ_S10_NSI_IJLi5ELi6ELi7EEEENSI_IJLi8ELi9ELi10EEEEEEENSI_IJLi5ELi6ELi7ELi8ELi9ELi10EEEElEENS_31BlockToCTileMap_M00_N00_M01_N01ILi128ELi128ES12_Lb0EEELb0ELb1EEEvPKT0_S24_PT1_T2_T3_T4_T5_
; %bb.0:
	s_clause 0x9
	s_load_b128 s[16:19], s[0:1], 0x11c
	s_load_b128 s[8:11], s[0:1], 0x130
	s_load_b32 s2, s[0:1], 0x50
	s_load_b128 s[20:23], s[0:1], 0x0
	s_load_b128 s[24:27], s[0:1], 0x108
	s_load_b32 s13, s[0:1], 0x24
	s_load_b32 s14, s[0:1], 0x60
	;; [unrolled: 1-line block ×5, first 2 shown]
	v_lshrrev_b32_e32 v1, 4, v0
	v_dual_mov_b32 v165, 0 :: v_dual_lshlrev_b32 v6, 2, v0
	v_dual_mov_b32 v116, 0 :: v_dual_mov_b32 v143, 0
	s_delay_alu instid0(VALU_DEP_3) | instskip(NEXT) | instid1(VALU_DEP_3)
	v_and_b32_e32 v7, 14, v1
	v_and_b32_e32 v20, 0x7c, v6
	v_mov_b32_e32 v164, 0
	s_mov_b32 s7, 0x31004000
	v_dual_mov_b32 v136, 0 :: v_dual_mov_b32 v167, 0
	v_dual_mov_b32 v170, 0 :: v_dual_lshlrev_b32 v5, 1, v7
	v_mov_b32_e32 v171, 0
	s_waitcnt lgkmcnt(0)
	s_mov_b32 s5, s21
	s_mul_hi_u32 s4, s19, s15
	s_mov_b32 s19, s7
	s_add_i32 s4, s15, s4
	s_lshl_b32 s6, s2, 1
	s_lshr_b32 s11, s4, s11
	v_dual_mov_b32 v172, 0 :: v_dual_mov_b32 v173, 0
	s_mul_hi_u32 s4, s11, s18
	s_lshl_b32 s18, s12, 1
	s_add_i32 s4, s11, s4
	v_dual_mov_b32 v174, 0 :: v_dual_mov_b32 v157, 0
	s_lshr_b32 s2, s4, s10
	s_mov_b32 s4, s20
	s_mul_hi_u32 s10, s2, s17
	s_mul_i32 s17, s11, s27
	s_add_i32 s10, s2, s10
	v_dual_mov_b32 v154, 0 :: v_dual_mov_b32 v159, 0
	s_lshr_b32 s9, s10, s9
	s_sub_i32 s10, s15, s17
	s_mul_i32 s15, s9, s25
	s_mul_i32 s17, s2, s26
	s_sub_i32 s2, s2, s15
	s_mul_hi_u32 s15, s9, s16
	s_mul_i32 s2, s2, s28
	s_add_i32 s15, s9, s15
	s_add_i32 s10, s10, s2
	s_lshr_b32 s8, s15, s8
	s_lshl_b32 s2, s10, 7
	s_mul_i32 s8, s8, s24
	v_or_b32_e32 v1, s2, v20
	s_sub_i32 s8, s9, s8
	s_sub_i32 s9, s11, s17
	s_mul_i32 s8, s8, s3
	s_lshl_b32 s11, s14, 1
	s_add_i32 s9, s9, s8
	v_mad_u64_u32 v[2:3], null, s14, v5, v[1:2]
	s_lshl_b32 s3, s9, 7
	s_lshl_b32 s10, s13, 1
	v_or_b32_e32 v1, s3, v20
	v_dual_mov_b32 v141, 0 :: v_dual_mov_b32 v166, 0
	s_mov_b32 s16, s22
	s_delay_alu instid0(VALU_DEP_3) | instskip(NEXT) | instid1(VALU_DEP_3)
	v_add_nc_u32_e32 v8, s14, v2
	v_mad_u64_u32 v[3:4], null, s13, v5, v[1:2]
	v_add_nc_u32_e32 v1, s11, v2
	v_dual_mov_b32 v145, 0 :: v_dual_lshlrev_b32 v2, 1, v2
	s_delay_alu instid0(VALU_DEP_4) | instskip(NEXT) | instid1(VALU_DEP_4)
	v_dual_mov_b32 v138, 0 :: v_dual_add_nc_u32 v21, s11, v8
	v_dual_mov_b32 v139, 0 :: v_dual_add_nc_u32 v10, s13, v3
	;; [unrolled: 1-line block ×3, first 2 shown]
	v_dual_mov_b32 v168, 0 :: v_dual_lshlrev_b32 v9, 1, v8
	s_delay_alu instid0(VALU_DEP_3)
	v_dual_mov_b32 v130, 0 :: v_dual_add_nc_u32 v23, s10, v10
	v_dual_mov_b32 v140, 0 :: v_dual_lshlrev_b32 v11, 1, v21
	v_dual_mov_b32 v147, 0 :: v_dual_lshlrev_b32 v8, 1, v1
	v_dual_mov_b32 v137, 0 :: v_dual_lshlrev_b32 v12, 1, v3
	s_mov_b32 s17, s23
	v_dual_mov_b32 v135, 0 :: v_dual_lshlrev_b32 v14, 1, v10
	v_dual_mov_b32 v175, 0 :: v_dual_lshlrev_b32 v16, 1, v22
	buffer_load_b64 v[4:5], v2, s[16:19], 0 offen
	v_dual_mov_b32 v169, 0 :: v_dual_lshlrev_b32 v18, 1, v23
	s_clause 0x2
	buffer_load_b64 v[2:3], v9, s[16:19], 0 offen
	buffer_load_b64 v[8:9], v8, s[16:19], 0 offen
	;; [unrolled: 1-line block ×3, first 2 shown]
	s_clause 0x3
	buffer_load_b64 v[12:13], v12, s[4:7], 0 offen
	buffer_load_b64 v[14:15], v14, s[4:7], 0 offen
	;; [unrolled: 1-line block ×4, first 2 shown]
	v_lshlrev_b32_e32 v24, 1, v0
	v_mov_b32_e32 v122, 0
	v_lshrrev_b32_e32 v0, 5, v0
	s_clause 0x2
	s_load_b64 s[8:9], s[0:1], 0x10
	s_load_b32 s12, s[0:1], 0xa0
	s_load_b32 s0, s[0:1], 0xd0
	v_and_b32_e32 v25, 0x1f8, v24
	v_and_b32_e32 v24, 0x1fc, v24
	v_lshlrev_b32_e32 v26, 6, v0
	v_lshlrev_b32_e32 v20, 2, v20
	s_mul_i32 s1, s14, 30
	s_mul_i32 s15, s13, 30
	v_sub_nc_u32_e32 v24, v24, v25
	v_sub_nc_u32_e32 v25, v25, v26
	v_mov_b32_e32 v144, 0
	v_lshl_or_b32 v180, v7, 9, v20
	v_add_nc_u32_e32 v7, s15, v23
	v_lshl_add_u32 v177, v0, 3, v24
	v_add_nc_u32_e32 v0, s1, v21
	v_and_or_b32 v176, v6, 4, v25
	v_add_lshl_u32 v21, v22, s15, 1
	v_add_nc_u32_e32 v22, s10, v7
	v_add_lshl_u32 v20, v1, s1, 1
	v_add_nc_u32_e32 v6, s11, v0
	v_dual_mov_b32 v162, 0 :: v_dual_lshlrev_b32 v23, 1, v0
	s_delay_alu instid0(VALU_DEP_4) | instskip(SKIP_1) | instid1(VALU_DEP_4)
	v_lshlrev_b32_e32 v27, 1, v22
	v_subrev_nc_u32_e32 v22, s13, v22
	v_subrev_nc_u32_e32 v1, s14, v6
	v_lshlrev_b32_e32 v24, 1, v6
	v_dual_mov_b32 v160, 0 :: v_dual_lshlrev_b32 v25, 1, v7
	s_delay_alu instid0(VALU_DEP_3)
	v_dual_mov_b32 v151, 0 :: v_dual_lshlrev_b32 v26, 1, v1
	v_dual_mov_b32 v148, 0 :: v_dual_mov_b32 v113, 0
	v_dual_mov_b32 v146, 0 :: v_dual_mov_b32 v115, 0
	;; [unrolled: 1-line block ×15, first 2 shown]
	v_dual_mov_b32 v142, 0 :: v_dual_lshlrev_b32 v179, 2, v176
	v_lshlrev_b32_e32 v178, 2, v177
	s_waitcnt lgkmcnt(0)
	s_lshl_b32 s10, s0, 1
	s_mov_b32 s11, s7
	s_waitcnt vmcnt(6)
	v_perm_b32 v1, v2, v4, 0x7060302
	v_perm_b32 v0, v2, v4, 0x5040100
	v_perm_b32 v2, v3, v5, 0x5040100
	v_perm_b32 v3, v3, v5, 0x7060302
	s_waitcnt vmcnt(4)
	v_perm_b32 v7, v11, v9, 0x7060302
	v_perm_b32 v5, v10, v8, 0x7060302
	v_perm_b32 v4, v10, v8, 0x5040100
	v_perm_b32 v6, v11, v9, 0x5040100
	s_waitcnt vmcnt(2)
	v_perm_b32 v9, v14, v12, 0x7060302
	v_perm_b32 v8, v14, v12, 0x5040100
	v_perm_b32 v10, v15, v13, 0x5040100
	v_perm_b32 v11, v15, v13, 0x7060302
	s_waitcnt vmcnt(0)
	v_perm_b32 v15, v19, v17, 0x7060302
	v_perm_b32 v13, v18, v16, 0x7060302
	v_perm_b32 v12, v18, v16, 0x5040100
	v_perm_b32 v14, v19, v17, 0x5040100
	v_lshlrev_b32_e32 v16, 1, v22
	ds_store_b128 v180, v[0:3] offset:16384
	ds_store_b128 v180, v[4:7] offset:16896
	ds_store_b128 v180, v[8:11]
	ds_store_b128 v180, v[12:15] offset:512
	s_waitcnt lgkmcnt(0)
	s_barrier
	s_clause 0x3
	buffer_load_b64 v[108:109], v21, s[4:7], 0 offen
	buffer_load_b64 v[110:111], v25, s[4:7], 0 offen
	;; [unrolled: 1-line block ×4, first 2 shown]
	s_clause 0x3
	buffer_load_b64 v[100:101], v20, s[16:19], 0 offen
	buffer_load_b64 v[102:103], v23, s[16:19], 0 offen
	;; [unrolled: 1-line block ×4, first 2 shown]
	ds_load_b128 v[64:67], v179 offset:16384
	ds_load_b128 v[52:55], v179 offset:16640
	ds_load_b128 v[92:95], v178
	ds_load_b128 v[56:59], v178 offset:256
	ds_load_b128 v[8:11], v179 offset:16896
	;; [unrolled: 1-line block ×21, first 2 shown]
	s_waitcnt lgkmcnt(21)
	v_dot2acc_f32_f16 v169, v93, v52
	v_dot2acc_f32_f16 v165, v92, v64
	;; [unrolled: 1-line block ×3, first 2 shown]
	v_dual_dot2acc_f32_f16 v166, v92, v66 :: v_dual_dot2acc_f32_f16 v167, v93, v53
	v_dual_dot2acc_f32_f16 v168, v92, v67 :: v_dual_dot2acc_f32_f16 v143, v93, v64
	v_dot2acc_f32_f16 v141, v93, v65
	v_dot2acc_f32_f16 v145, v93, v66
	;; [unrolled: 1-line block ×4, first 2 shown]
	v_dual_dot2acc_f32_f16 v138, v94, v65 :: v_dual_dot2acc_f32_f16 v171, v93, v54
	v_dot2acc_f32_f16 v139, v94, v66
	v_dual_dot2acc_f32_f16 v140, v94, v67 :: v_dual_dot2acc_f32_f16 v151, v95, v54
	v_dual_dot2acc_f32_f16 v130, v95, v64 :: v_dual_dot2acc_f32_f16 v173, v93, v55
	v_dot2acc_f32_f16 v131, v95, v65
	v_dot2acc_f32_f16 v135, v95, v66
	v_dual_dot2acc_f32_f16 v136, v95, v67 :: v_dual_dot2acc_f32_f16 v157, v94, v52
	v_dual_dot2acc_f32_f16 v170, v92, v52 :: v_dual_dot2acc_f32_f16 v159, v94, v54
	s_waitcnt lgkmcnt(20)
	v_dual_dot2acc_f32_f16 v172, v92, v53 :: v_dual_dot2acc_f32_f16 v117, v57, v64
	v_dual_dot2acc_f32_f16 v174, v92, v54 :: v_dual_dot2acc_f32_f16 v153, v59, v64
	;; [unrolled: 1-line block ×7, first 2 shown]
	v_dot2acc_f32_f16 v119, v56, v52
	v_dual_dot2acc_f32_f16 v112, v56, v65 :: v_dual_dot2acc_f32_f16 v127, v57, v54
	v_dual_dot2acc_f32_f16 v114, v56, v66 :: v_dual_dot2acc_f32_f16 v125, v57, v53
	;; [unrolled: 1-line block ×8, first 2 shown]
	s_waitcnt lgkmcnt(17)
	v_dual_dot2acc_f32_f16 v156, v59, v66 :: v_dual_dot2acc_f32_f16 v165, v40, v8
	v_dual_dot2acc_f32_f16 v158, v59, v67 :: v_dual_dot2acc_f32_f16 v143, v41, v8
	;; [unrolled: 1-line block ×17, first 2 shown]
	s_waitcnt lgkmcnt(16)
	v_dual_dot2acc_f32_f16 v172, v40, v1 :: v_dual_dot2acc_f32_f16 v117, v5, v8
	v_dual_dot2acc_f32_f16 v174, v40, v2 :: v_dual_dot2acc_f32_f16 v153, v7, v8
	;; [unrolled: 1-line block ×15, first 2 shown]
	s_waitcnt lgkmcnt(13)
	v_dual_dot2acc_f32_f16 v156, v7, v10 :: v_dual_dot2acc_f32_f16 v165, v24, v12
	v_dual_dot2acc_f32_f16 v158, v7, v11 :: v_dual_dot2acc_f32_f16 v143, v25, v12
	;; [unrolled: 1-line block ×9, first 2 shown]
	ds_load_b128 v[92:95], v179 offset:19456
	ds_load_b128 v[64:67], v179 offset:19712
	;; [unrolled: 1-line block ×4, first 2 shown]
	v_dual_dot2acc_f32_f16 v164, v24, v13 :: v_dual_dot2acc_f32_f16 v171, v25, v18
	v_dual_dot2acc_f32_f16 v166, v24, v14 :: v_dual_dot2acc_f32_f16 v131, v27, v13
	;; [unrolled: 1-line block ×8, first 2 shown]
	s_waitcnt lgkmcnt(16)
	v_dual_dot2acc_f32_f16 v172, v24, v17 :: v_dual_dot2acc_f32_f16 v117, v21, v12
	v_dual_dot2acc_f32_f16 v174, v24, v18 :: v_dual_dot2acc_f32_f16 v153, v23, v12
	;; [unrolled: 1-line block ×15, first 2 shown]
	s_waitcnt lgkmcnt(13)
	v_dual_dot2acc_f32_f16 v156, v23, v14 :: v_dual_dot2acc_f32_f16 v165, v44, v28
	v_dual_dot2acc_f32_f16 v158, v23, v15 :: v_dual_dot2acc_f32_f16 v143, v45, v28
	;; [unrolled: 1-line block ×9, first 2 shown]
	ds_load_b128 v[40:43], v179 offset:19968
	ds_load_b128 v[181:184], v179 offset:20224
	;; [unrolled: 1-line block ×4, first 2 shown]
	v_dual_dot2acc_f32_f16 v164, v44, v29 :: v_dual_dot2acc_f32_f16 v171, v45, v34
	v_dual_dot2acc_f32_f16 v166, v44, v30 :: v_dual_dot2acc_f32_f16 v131, v47, v29
	;; [unrolled: 1-line block ×8, first 2 shown]
	s_waitcnt lgkmcnt(16)
	v_dual_dot2acc_f32_f16 v172, v44, v33 :: v_dual_dot2acc_f32_f16 v117, v37, v28
	v_dual_dot2acc_f32_f16 v174, v44, v34 :: v_dual_dot2acc_f32_f16 v153, v39, v28
	;; [unrolled: 1-line block ×15, first 2 shown]
	s_waitcnt lgkmcnt(13)
	v_dual_dot2acc_f32_f16 v156, v39, v30 :: v_dual_dot2acc_f32_f16 v165, v72, v48
	v_dual_dot2acc_f32_f16 v158, v39, v31 :: v_dual_dot2acc_f32_f16 v143, v73, v48
	;; [unrolled: 1-line block ×17, first 2 shown]
	s_waitcnt lgkmcnt(12)
	v_dual_dot2acc_f32_f16 v172, v72, v61 :: v_dual_dot2acc_f32_f16 v117, v69, v48
	v_dual_dot2acc_f32_f16 v174, v72, v62 :: v_dual_dot2acc_f32_f16 v153, v71, v48
	;; [unrolled: 1-line block ×15, first 2 shown]
	s_waitcnt lgkmcnt(9)
	v_dual_dot2acc_f32_f16 v156, v71, v50 :: v_dual_dot2acc_f32_f16 v165, v88, v76
	v_dual_dot2acc_f32_f16 v158, v71, v51 :: v_dual_dot2acc_f32_f16 v143, v89, v76
	;; [unrolled: 1-line block ×9, first 2 shown]
	ds_load_b128 v[16:19], v178 offset:4096
	ds_load_b128 v[28:31], v178 offset:4352
	;; [unrolled: 1-line block ×4, first 2 shown]
	v_dual_dot2acc_f32_f16 v164, v88, v77 :: v_dual_dot2acc_f32_f16 v171, v89, v82
	v_dual_dot2acc_f32_f16 v166, v88, v78 :: v_dual_dot2acc_f32_f16 v131, v91, v77
	;; [unrolled: 1-line block ×8, first 2 shown]
	s_waitcnt lgkmcnt(12)
	v_dual_dot2acc_f32_f16 v172, v88, v81 :: v_dual_dot2acc_f32_f16 v117, v85, v76
	v_dual_dot2acc_f32_f16 v174, v88, v82 :: v_dual_dot2acc_f32_f16 v153, v87, v76
	;; [unrolled: 1-line block ×15, first 2 shown]
	s_waitcnt lgkmcnt(9)
	v_dual_dot2acc_f32_f16 v156, v87, v78 :: v_dual_dot2acc_f32_f16 v165, v56, v92
	v_dual_dot2acc_f32_f16 v158, v87, v79 :: v_dual_dot2acc_f32_f16 v143, v57, v92
	v_dual_dot2acc_f32_f16 v120, v84, v81 :: v_dual_dot2acc_f32_f16 v145, v57, v94
	v_dual_dot2acc_f32_f16 v122, v84, v83 :: v_dual_dot2acc_f32_f16 v141, v57, v93
	v_dual_dot2acc_f32_f16 v126, v85, v80 :: v_dual_dot2acc_f32_f16 v139, v58, v94
	v_dual_dot2acc_f32_f16 v144, v86, v80 :: v_dual_dot2acc_f32_f16 v147, v57, v95
	v_dual_dot2acc_f32_f16 v142, v86, v81 :: v_dual_dot2acc_f32_f16 v135, v59, v94
	v_dual_dot2acc_f32_f16 v162, v87, v81 :: v_dual_dot2acc_f32_f16 v137, v58, v92
	v_dual_dot2acc_f32_f16 v116, v87, v83 :: v_dual_dot2acc_f32_f16 v169, v57, v64
	v_dual_dot2acc_f32_f16 v164, v56, v93 :: v_dual_dot2acc_f32_f16 v171, v57, v66
	v_dual_dot2acc_f32_f16 v166, v56, v94 :: v_dual_dot2acc_f32_f16 v131, v59, v93
	v_dual_dot2acc_f32_f16 v168, v56, v95 :: v_dual_dot2acc_f32_f16 v167, v57, v65
	v_dual_dot2acc_f32_f16 v138, v58, v93 :: v_dual_dot2acc_f32_f16 v175, v56, v67
	v_dual_dot2acc_f32_f16 v140, v58, v95 :: v_dual_dot2acc_f32_f16 v151, v59, v66
	v_dual_dot2acc_f32_f16 v130, v59, v92 :: v_dual_dot2acc_f32_f16 v173, v57, v67
	v_dual_dot2acc_f32_f16 v136, v59, v95 :: v_dual_dot2acc_f32_f16 v157, v58, v64
	v_dual_dot2acc_f32_f16 v170, v56, v64 :: v_dual_dot2acc_f32_f16 v159, v58, v66
	s_waitcnt lgkmcnt(8)
	v_dual_dot2acc_f32_f16 v172, v56, v65 :: v_dual_dot2acc_f32_f16 v117, v53, v92
	v_dual_dot2acc_f32_f16 v174, v56, v66 :: v_dual_dot2acc_f32_f16 v153, v55, v92
	;; [unrolled: 1-line block ×15, first 2 shown]
	s_waitcnt lgkmcnt(5)
	v_dual_dot2acc_f32_f16 v156, v55, v94 :: v_dual_dot2acc_f32_f16 v165, v185, v40
	v_dual_dot2acc_f32_f16 v158, v55, v95 :: v_dual_dot2acc_f32_f16 v143, v186, v40
	;; [unrolled: 1-line block ×13, first 2 shown]
	s_waitcnt lgkmcnt(4)
	v_dual_dot2acc_f32_f16 v140, v187, v43 :: v_dual_dot2acc_f32_f16 v113, v189, v40
	v_dual_dot2acc_f32_f16 v130, v188, v40 :: v_dual_dot2acc_f32_f16 v171, v186, v183
	;; [unrolled: 1-line block ×18, first 2 shown]
	s_waitcnt lgkmcnt(1)
	v_dual_dot2acc_f32_f16 v150, v192, v41 :: v_dual_dot2acc_f32_f16 v143, v17, v20
	v_dual_dot2acc_f32_f16 v156, v192, v42 :: v_dual_dot2acc_f32_f16 v141, v17, v21
	;; [unrolled: 1-line block ×10, first 2 shown]
	s_waitcnt lgkmcnt(0)
	v_dual_dot2acc_f32_f16 v164, v16, v21 :: v_dual_dot2acc_f32_f16 v169, v17, v24
	v_dual_dot2acc_f32_f16 v166, v16, v22 :: v_dual_dot2acc_f32_f16 v167, v17, v25
	;; [unrolled: 1-line block ×15, first 2 shown]
	ds_load_b128 v[16:19], v178 offset:4608
	v_dual_dot2acc_f32_f16 v112, v28, v21 :: v_dual_dot2acc_f32_f16 v127, v29, v26
	v_dual_dot2acc_f32_f16 v114, v28, v22 :: v_dual_dot2acc_f32_f16 v125, v29, v25
	;; [unrolled: 1-line block ×8, first 2 shown]
	ds_load_b128 v[32:35], v179 offset:20992
	v_dot2acc_f32_f16 v120, v28, v25
	v_dot2acc_f32_f16 v122, v28, v27
	;; [unrolled: 1-line block ×7, first 2 shown]
	ds_load_b128 v[24:27], v178 offset:4864
	v_dot2acc_f32_f16 v156, v31, v22
	v_dot2acc_f32_f16 v158, v31, v23
	ds_load_b128 v[20:23], v179 offset:21248
	ds_load_b128 v[28:31], v179 offset:21504
	s_waitcnt vmcnt(6)
	v_perm_b32 v1, v110, v108, 0x7060302
	v_perm_b32 v0, v110, v108, 0x5040100
	;; [unrolled: 1-line block ×4, first 2 shown]
	s_waitcnt vmcnt(4)
	v_perm_b32 v5, v104, v106, 0x7060302
	v_perm_b32 v4, v104, v106, 0x5040100
	v_perm_b32 v6, v105, v107, 0x5040100
	s_waitcnt lgkmcnt(3)
	v_dot2acc_f32_f16 v165, v16, v32
	v_dot2acc_f32_f16 v164, v16, v33
	v_dual_dot2acc_f32_f16 v166, v16, v34 :: v_dual_dot2acc_f32_f16 v131, v19, v33
	v_dual_dot2acc_f32_f16 v168, v16, v35 :: v_dual_dot2acc_f32_f16 v143, v17, v32
	v_dot2acc_f32_f16 v141, v17, v33
	v_dot2acc_f32_f16 v145, v17, v34
	;; [unrolled: 1-line block ×4, first 2 shown]
	s_waitcnt lgkmcnt(1)
	v_dual_dot2acc_f32_f16 v138, v18, v33 :: v_dual_dot2acc_f32_f16 v175, v16, v23
	v_dot2acc_f32_f16 v139, v18, v34
	v_dual_dot2acc_f32_f16 v140, v18, v35 :: v_dual_dot2acc_f32_f16 v151, v19, v22
	v_dual_dot2acc_f32_f16 v130, v19, v32 :: v_dual_dot2acc_f32_f16 v173, v17, v23
	v_dot2acc_f32_f16 v135, v19, v34
	v_dual_dot2acc_f32_f16 v136, v19, v35 :: v_dual_dot2acc_f32_f16 v157, v18, v20
	v_dual_dot2acc_f32_f16 v170, v16, v20 :: v_dual_dot2acc_f32_f16 v159, v18, v22
	;; [unrolled: 1-line block ×4, first 2 shown]
	v_dot2acc_f32_f16 v169, v17, v20
	v_dot2acc_f32_f16 v167, v17, v21
	v_dual_dot2acc_f32_f16 v171, v17, v22 :: v_dual_dot2acc_f32_f16 v154, v18, v21
	v_dual_dot2acc_f32_f16 v113, v24, v32 :: v_dual_dot2acc_f32_f16 v160, v18, v23
	v_dual_dot2acc_f32_f16 v123, v25, v34 :: v_dual_dot2acc_f32_f16 v148, v19, v20
	v_dual_dot2acc_f32_f16 v115, v24, v35 :: v_dual_dot2acc_f32_f16 v146, v19, v21
	v_dual_dot2acc_f32_f16 v133, v26, v34 :: v_dual_dot2acc_f32_f16 v152, v19, v23
	v_dot2acc_f32_f16 v119, v24, v20
	ds_load_b128 v[16:19], v178 offset:5120
	v_dual_dot2acc_f32_f16 v112, v24, v33 :: v_dual_dot2acc_f32_f16 v127, v25, v22
	v_dual_dot2acc_f32_f16 v114, v24, v34 :: v_dual_dot2acc_f32_f16 v125, v25, v21
	;; [unrolled: 1-line block ×8, first 2 shown]
	v_dot2acc_f32_f16 v120, v24, v21
	v_dot2acc_f32_f16 v122, v24, v23
	;; [unrolled: 1-line block ×7, first 2 shown]
	ds_load_b128 v[20:23], v178 offset:5376
	v_dot2acc_f32_f16 v156, v27, v34
	v_dot2acc_f32_f16 v158, v27, v35
	ds_load_b128 v[32:35], v179 offset:21760
	s_waitcnt lgkmcnt(2)
	v_dot2acc_f32_f16 v143, v17, v28
	v_dot2acc_f32_f16 v165, v16, v28
	;; [unrolled: 1-line block ×3, first 2 shown]
	v_dual_dot2acc_f32_f16 v166, v16, v30 :: v_dual_dot2acc_f32_f16 v131, v19, v29
	v_dual_dot2acc_f32_f16 v168, v16, v31 :: v_dual_dot2acc_f32_f16 v141, v17, v29
	v_dot2acc_f32_f16 v145, v17, v30
	v_dot2acc_f32_f16 v147, v17, v31
	v_dot2acc_f32_f16 v137, v18, v28
	v_dot2acc_f32_f16 v138, v18, v29
	v_dot2acc_f32_f16 v139, v18, v30
	v_dot2acc_f32_f16 v140, v18, v31
	v_dot2acc_f32_f16 v130, v19, v28
	v_dot2acc_f32_f16 v135, v19, v30
	s_waitcnt lgkmcnt(1)
	v_dual_dot2acc_f32_f16 v136, v19, v31 :: v_dual_dot2acc_f32_f16 v113, v20, v28
	v_dot2acc_f32_f16 v112, v20, v29
	s_waitcnt lgkmcnt(0)
	v_dual_dot2acc_f32_f16 v114, v20, v30 :: v_dual_dot2acc_f32_f16 v125, v21, v33
	v_dual_dot2acc_f32_f16 v170, v16, v32 :: v_dual_dot2acc_f32_f16 v159, v18, v34
	;; [unrolled: 1-line block ×4, first 2 shown]
	v_dot2acc_f32_f16 v175, v16, v35
	v_dot2acc_f32_f16 v169, v17, v32
	;; [unrolled: 1-line block ×7, first 2 shown]
	v_dual_dot2acc_f32_f16 v160, v18, v35 :: v_dual_dot2acc_f32_f16 v123, v21, v30
	v_dual_dot2acc_f32_f16 v148, v19, v32 :: v_dual_dot2acc_f32_f16 v115, v20, v31
	;; [unrolled: 1-line block ×3, first 2 shown]
	v_dot2acc_f32_f16 v151, v19, v34
	v_dual_dot2acc_f32_f16 v152, v19, v35 :: v_dual_dot2acc_f32_f16 v119, v20, v32
	ds_load_b128 v[16:19], v178 offset:5632
	v_dual_dot2acc_f32_f16 v118, v21, v29 :: v_dual_dot2acc_f32_f16 v121, v20, v34
	v_dual_dot2acc_f32_f16 v124, v21, v31 :: v_dual_dot2acc_f32_f16 v149, v22, v34
	;; [unrolled: 1-line block ×6, first 2 shown]
	ds_load_b128 v[24:27], v179 offset:22016
	v_dot2acc_f32_f16 v156, v23, v30
	v_dual_dot2acc_f32_f16 v158, v23, v31 :: v_dual_dot2acc_f32_f16 v127, v21, v34
	ds_load_b128 v[28:31], v179 offset:22272
	v_dot2acc_f32_f16 v120, v20, v33
	v_dot2acc_f32_f16 v122, v20, v35
	;; [unrolled: 1-line block ×7, first 2 shown]
	ds_load_b128 v[20:23], v178 offset:5888
	ds_load_b128 v[32:35], v179 offset:22528
	v_perm_b32 v7, v105, v107, 0x7060302
	s_waitcnt vmcnt(2)
	v_perm_b32 v9, v102, v100, 0x7060302
	v_perm_b32 v8, v102, v100, 0x5040100
	;; [unrolled: 1-line block ×4, first 2 shown]
	s_waitcnt vmcnt(0)
	v_perm_b32 v13, v96, v98, 0x7060302
	s_waitcnt lgkmcnt(3)
	v_dot2acc_f32_f16 v165, v16, v24
	v_dot2acc_f32_f16 v164, v16, v25
	v_dual_dot2acc_f32_f16 v166, v16, v26 :: v_dual_dot2acc_f32_f16 v131, v19, v25
	s_waitcnt lgkmcnt(2)
	v_dual_dot2acc_f32_f16 v168, v16, v27 :: v_dual_dot2acc_f32_f16 v167, v17, v29
	v_dot2acc_f32_f16 v143, v17, v24
	v_dot2acc_f32_f16 v141, v17, v25
	;; [unrolled: 1-line block ×5, first 2 shown]
	v_dual_dot2acc_f32_f16 v138, v18, v25 :: v_dual_dot2acc_f32_f16 v175, v16, v31
	v_dot2acc_f32_f16 v139, v18, v26
	v_dual_dot2acc_f32_f16 v140, v18, v27 :: v_dual_dot2acc_f32_f16 v151, v19, v30
	v_dual_dot2acc_f32_f16 v130, v19, v24 :: v_dual_dot2acc_f32_f16 v173, v17, v31
	v_dot2acc_f32_f16 v135, v19, v26
	v_dual_dot2acc_f32_f16 v136, v19, v27 :: v_dual_dot2acc_f32_f16 v157, v18, v28
	v_dual_dot2acc_f32_f16 v170, v16, v28 :: v_dual_dot2acc_f32_f16 v159, v18, v30
	s_waitcnt lgkmcnt(1)
	v_dual_dot2acc_f32_f16 v172, v16, v29 :: v_dual_dot2acc_f32_f16 v117, v21, v24
	v_dual_dot2acc_f32_f16 v174, v16, v30 :: v_dual_dot2acc_f32_f16 v153, v23, v24
	v_dot2acc_f32_f16 v169, v17, v28
	v_dual_dot2acc_f32_f16 v171, v17, v30 :: v_dual_dot2acc_f32_f16 v154, v18, v29
	v_dual_dot2acc_f32_f16 v113, v20, v24 :: v_dual_dot2acc_f32_f16 v160, v18, v31
	;; [unrolled: 1-line block ×5, first 2 shown]
	v_dot2acc_f32_f16 v119, v20, v28
	ds_load_b128 v[16:19], v178 offset:6144
	v_dual_dot2acc_f32_f16 v112, v20, v25 :: v_dual_dot2acc_f32_f16 v127, v21, v30
	v_dual_dot2acc_f32_f16 v114, v20, v26 :: v_dual_dot2acc_f32_f16 v125, v21, v29
	;; [unrolled: 1-line block ×8, first 2 shown]
	v_dot2acc_f32_f16 v156, v23, v26
	v_dot2acc_f32_f16 v158, v23, v27
	ds_load_b128 v[24:27], v179 offset:22784
	v_dot2acc_f32_f16 v120, v20, v29
	v_dot2acc_f32_f16 v122, v20, v31
	;; [unrolled: 1-line block ×7, first 2 shown]
	ds_load_b128 v[20:23], v178 offset:6400
	s_waitcnt lgkmcnt(2)
	v_dot2acc_f32_f16 v165, v16, v32
	v_dot2acc_f32_f16 v164, v16, v33
	v_dual_dot2acc_f32_f16 v166, v16, v34 :: v_dual_dot2acc_f32_f16 v131, v19, v33
	v_dual_dot2acc_f32_f16 v168, v16, v35 :: v_dual_dot2acc_f32_f16 v143, v17, v32
	v_dot2acc_f32_f16 v141, v17, v33
	v_dot2acc_f32_f16 v145, v17, v34
	;; [unrolled: 1-line block ×4, first 2 shown]
	s_waitcnt lgkmcnt(1)
	v_dual_dot2acc_f32_f16 v138, v18, v33 :: v_dual_dot2acc_f32_f16 v175, v16, v27
	v_dot2acc_f32_f16 v139, v18, v34
	v_dual_dot2acc_f32_f16 v140, v18, v35 :: v_dual_dot2acc_f32_f16 v151, v19, v26
	v_dual_dot2acc_f32_f16 v130, v19, v32 :: v_dual_dot2acc_f32_f16 v173, v17, v27
	v_dot2acc_f32_f16 v135, v19, v34
	v_dual_dot2acc_f32_f16 v136, v19, v35 :: v_dual_dot2acc_f32_f16 v157, v18, v24
	v_dual_dot2acc_f32_f16 v170, v16, v24 :: v_dual_dot2acc_f32_f16 v159, v18, v26
	s_waitcnt lgkmcnt(0)
	v_dual_dot2acc_f32_f16 v172, v16, v25 :: v_dual_dot2acc_f32_f16 v117, v21, v32
	v_dual_dot2acc_f32_f16 v174, v16, v26 :: v_dual_dot2acc_f32_f16 v153, v23, v32
	v_dot2acc_f32_f16 v169, v17, v24
	v_dot2acc_f32_f16 v167, v17, v25
	v_dual_dot2acc_f32_f16 v171, v17, v26 :: v_dual_dot2acc_f32_f16 v154, v18, v25
	v_dual_dot2acc_f32_f16 v113, v20, v32 :: v_dual_dot2acc_f32_f16 v160, v18, v27
	;; [unrolled: 1-line block ×5, first 2 shown]
	v_dot2acc_f32_f16 v119, v20, v24
	ds_load_b128 v[16:19], v178 offset:6656
	v_dual_dot2acc_f32_f16 v112, v20, v33 :: v_dual_dot2acc_f32_f16 v127, v21, v26
	v_dual_dot2acc_f32_f16 v114, v20, v34 :: v_dual_dot2acc_f32_f16 v125, v21, v25
	;; [unrolled: 1-line block ×8, first 2 shown]
	ds_load_b128 v[28:31], v179 offset:23040
	v_dot2acc_f32_f16 v156, v23, v34
	v_dot2acc_f32_f16 v158, v23, v35
	ds_load_b128 v[32:35], v179 offset:23296
	v_dot2acc_f32_f16 v120, v20, v25
	v_dot2acc_f32_f16 v122, v20, v27
	;; [unrolled: 1-line block ×7, first 2 shown]
	ds_load_b128 v[20:23], v178 offset:6912
	ds_load_b128 v[24:27], v179 offset:23552
	v_perm_b32 v12, v96, v98, 0x5040100
	v_perm_b32 v14, v97, v99, 0x5040100
	;; [unrolled: 1-line block ×3, first 2 shown]
	s_waitcnt lgkmcnt(3)
	v_dot2acc_f32_f16 v165, v16, v28
	v_dot2acc_f32_f16 v164, v16, v29
	v_dual_dot2acc_f32_f16 v166, v16, v30 :: v_dual_dot2acc_f32_f16 v131, v19, v29
	s_waitcnt lgkmcnt(2)
	v_dual_dot2acc_f32_f16 v168, v16, v31 :: v_dual_dot2acc_f32_f16 v167, v17, v33
	v_dot2acc_f32_f16 v143, v17, v28
	v_dot2acc_f32_f16 v141, v17, v29
	;; [unrolled: 1-line block ×5, first 2 shown]
	v_dual_dot2acc_f32_f16 v138, v18, v29 :: v_dual_dot2acc_f32_f16 v175, v16, v35
	v_dot2acc_f32_f16 v139, v18, v30
	v_dual_dot2acc_f32_f16 v140, v18, v31 :: v_dual_dot2acc_f32_f16 v151, v19, v34
	v_dual_dot2acc_f32_f16 v130, v19, v28 :: v_dual_dot2acc_f32_f16 v173, v17, v35
	v_dot2acc_f32_f16 v135, v19, v30
	v_dual_dot2acc_f32_f16 v136, v19, v31 :: v_dual_dot2acc_f32_f16 v157, v18, v32
	v_dual_dot2acc_f32_f16 v170, v16, v32 :: v_dual_dot2acc_f32_f16 v159, v18, v34
	s_waitcnt lgkmcnt(1)
	v_dual_dot2acc_f32_f16 v172, v16, v33 :: v_dual_dot2acc_f32_f16 v117, v21, v28
	v_dual_dot2acc_f32_f16 v174, v16, v34 :: v_dual_dot2acc_f32_f16 v153, v23, v28
	v_dot2acc_f32_f16 v169, v17, v32
	v_dual_dot2acc_f32_f16 v171, v17, v34 :: v_dual_dot2acc_f32_f16 v154, v18, v33
	v_dual_dot2acc_f32_f16 v113, v20, v28 :: v_dual_dot2acc_f32_f16 v160, v18, v35
	;; [unrolled: 1-line block ×5, first 2 shown]
	v_dot2acc_f32_f16 v119, v20, v32
	ds_load_b128 v[16:19], v178 offset:7168
	v_dual_dot2acc_f32_f16 v112, v20, v29 :: v_dual_dot2acc_f32_f16 v127, v21, v34
	v_dual_dot2acc_f32_f16 v114, v20, v30 :: v_dual_dot2acc_f32_f16 v125, v21, v33
	v_dual_dot2acc_f32_f16 v118, v21, v29 :: v_dual_dot2acc_f32_f16 v121, v20, v34
	v_dual_dot2acc_f32_f16 v124, v21, v31 :: v_dual_dot2acc_f32_f16 v149, v22, v34
	v_dual_dot2acc_f32_f16 v132, v22, v28 :: v_dual_dot2acc_f32_f16 v129, v21, v35
	v_dual_dot2acc_f32_f16 v128, v22, v29 :: v_dual_dot2acc_f32_f16 v161, v23, v32
	v_dual_dot2acc_f32_f16 v134, v22, v31 :: v_dual_dot2acc_f32_f16 v163, v23, v34
	v_dual_dot2acc_f32_f16 v150, v23, v29 :: v_dual_dot2acc_f32_f16 v155, v22, v35
	v_dot2acc_f32_f16 v156, v23, v30
	v_dot2acc_f32_f16 v158, v23, v31
	ds_load_b128 v[28:31], v179 offset:23808
	v_dot2acc_f32_f16 v120, v20, v33
	v_dot2acc_f32_f16 v122, v20, v35
	;; [unrolled: 1-line block ×7, first 2 shown]
	ds_load_b128 v[20:23], v178 offset:7424
	s_waitcnt lgkmcnt(2)
	v_dot2acc_f32_f16 v165, v16, v24
	v_dot2acc_f32_f16 v164, v16, v25
	v_dual_dot2acc_f32_f16 v166, v16, v26 :: v_dual_dot2acc_f32_f16 v131, v19, v25
	v_dual_dot2acc_f32_f16 v168, v16, v27 :: v_dual_dot2acc_f32_f16 v143, v17, v24
	v_dot2acc_f32_f16 v141, v17, v25
	v_dot2acc_f32_f16 v145, v17, v26
	;; [unrolled: 1-line block ×4, first 2 shown]
	s_waitcnt lgkmcnt(1)
	v_dual_dot2acc_f32_f16 v138, v18, v25 :: v_dual_dot2acc_f32_f16 v175, v16, v31
	v_dot2acc_f32_f16 v139, v18, v26
	v_dual_dot2acc_f32_f16 v140, v18, v27 :: v_dual_dot2acc_f32_f16 v151, v19, v30
	v_dual_dot2acc_f32_f16 v130, v19, v24 :: v_dual_dot2acc_f32_f16 v173, v17, v31
	v_dot2acc_f32_f16 v135, v19, v26
	v_dual_dot2acc_f32_f16 v136, v19, v27 :: v_dual_dot2acc_f32_f16 v157, v18, v28
	v_dual_dot2acc_f32_f16 v170, v16, v28 :: v_dual_dot2acc_f32_f16 v159, v18, v30
	s_waitcnt lgkmcnt(0)
	v_dual_dot2acc_f32_f16 v172, v16, v29 :: v_dual_dot2acc_f32_f16 v117, v21, v24
	v_dual_dot2acc_f32_f16 v174, v16, v30 :: v_dual_dot2acc_f32_f16 v153, v23, v24
	v_dot2acc_f32_f16 v169, v17, v28
	v_dot2acc_f32_f16 v167, v17, v29
	v_dual_dot2acc_f32_f16 v171, v17, v30 :: v_dual_dot2acc_f32_f16 v154, v18, v29
	v_dual_dot2acc_f32_f16 v113, v20, v24 :: v_dual_dot2acc_f32_f16 v160, v18, v31
	;; [unrolled: 1-line block ×5, first 2 shown]
	v_dot2acc_f32_f16 v119, v20, v28
	ds_load_b128 v[16:19], v178 offset:7680
	v_dual_dot2acc_f32_f16 v112, v20, v25 :: v_dual_dot2acc_f32_f16 v127, v21, v30
	v_dual_dot2acc_f32_f16 v114, v20, v26 :: v_dual_dot2acc_f32_f16 v125, v21, v29
	;; [unrolled: 1-line block ×8, first 2 shown]
	ds_load_b128 v[32:35], v179 offset:24064
	v_dot2acc_f32_f16 v156, v23, v26
	v_dot2acc_f32_f16 v158, v23, v27
	ds_load_b128 v[24:27], v179 offset:24320
	v_dot2acc_f32_f16 v120, v20, v29
	v_dot2acc_f32_f16 v122, v20, v31
	;; [unrolled: 1-line block ×7, first 2 shown]
	ds_load_b128 v[20:23], v178 offset:7936
	ds_store_b128 v180, v[0:3] offset:8192
	ds_store_b128 v180, v[4:7] offset:8704
	;; [unrolled: 1-line block ×4, first 2 shown]
	s_waitcnt lgkmcnt(0)
	s_barrier
	ds_load_b128 v[0:3], v178 offset:8192
	ds_load_b128 v[4:7], v179 offset:24576
	;; [unrolled: 1-line block ×4, first 2 shown]
	v_dot2acc_f32_f16 v165, v16, v32
	v_dot2acc_f32_f16 v164, v16, v33
	v_dual_dot2acc_f32_f16 v166, v16, v34 :: v_dual_dot2acc_f32_f16 v131, v19, v33
	v_dual_dot2acc_f32_f16 v168, v16, v35 :: v_dual_dot2acc_f32_f16 v167, v17, v25
	v_dot2acc_f32_f16 v143, v17, v32
	v_dot2acc_f32_f16 v141, v17, v33
	;; [unrolled: 1-line block ×5, first 2 shown]
	v_dual_dot2acc_f32_f16 v138, v18, v33 :: v_dual_dot2acc_f32_f16 v175, v16, v27
	v_dot2acc_f32_f16 v139, v18, v34
	v_dual_dot2acc_f32_f16 v140, v18, v35 :: v_dual_dot2acc_f32_f16 v151, v19, v26
	v_dual_dot2acc_f32_f16 v130, v19, v32 :: v_dual_dot2acc_f32_f16 v173, v17, v27
	v_dot2acc_f32_f16 v135, v19, v34
	v_dual_dot2acc_f32_f16 v136, v19, v35 :: v_dual_dot2acc_f32_f16 v157, v18, v24
	v_dual_dot2acc_f32_f16 v170, v16, v24 :: v_dual_dot2acc_f32_f16 v159, v18, v26
	v_dual_dot2acc_f32_f16 v172, v16, v25 :: v_dual_dot2acc_f32_f16 v117, v21, v32
	v_dual_dot2acc_f32_f16 v174, v16, v26 :: v_dual_dot2acc_f32_f16 v153, v23, v32
	v_dot2acc_f32_f16 v169, v17, v24
	v_dual_dot2acc_f32_f16 v171, v17, v26 :: v_dual_dot2acc_f32_f16 v154, v18, v25
	v_dual_dot2acc_f32_f16 v113, v20, v32 :: v_dual_dot2acc_f32_f16 v160, v18, v27
	v_dual_dot2acc_f32_f16 v123, v21, v34 :: v_dual_dot2acc_f32_f16 v148, v19, v24
	v_dual_dot2acc_f32_f16 v115, v20, v35 :: v_dual_dot2acc_f32_f16 v146, v19, v25
	v_dual_dot2acc_f32_f16 v133, v22, v34 :: v_dual_dot2acc_f32_f16 v152, v19, v27
	v_dot2acc_f32_f16 v119, v20, v24
	v_dual_dot2acc_f32_f16 v112, v20, v33 :: v_dual_dot2acc_f32_f16 v127, v21, v26
	v_dual_dot2acc_f32_f16 v114, v20, v34 :: v_dual_dot2acc_f32_f16 v125, v21, v25
	;; [unrolled: 1-line block ×8, first 2 shown]
	s_waitcnt lgkmcnt(2)
	v_dual_dot2acc_f32_f16 v156, v23, v34 :: v_dual_dot2acc_f32_f16 v165, v0, v4
	v_dual_dot2acc_f32_f16 v158, v23, v35 :: v_dual_dot2acc_f32_f16 v143, v1, v4
	;; [unrolled: 1-line block ×8, first 2 shown]
	ds_load_b128 v[16:19], v179 offset:25088
	s_waitcnt lgkmcnt(2)
	v_dual_dot2acc_f32_f16 v116, v23, v27 :: v_dual_dot2acc_f32_f16 v169, v1, v8
	v_dual_dot2acc_f32_f16 v164, v0, v5 :: v_dual_dot2acc_f32_f16 v171, v1, v10
	;; [unrolled: 1-line block ×9, first 2 shown]
	v_dot2acc_f32_f16 v172, v0, v9
	v_dot2acc_f32_f16 v174, v0, v10
	v_dot2acc_f32_f16 v154, v2, v9
	v_dot2acc_f32_f16 v160, v2, v11
	v_dot2acc_f32_f16 v148, v3, v8
	v_dot2acc_f32_f16 v146, v3, v9
	v_dot2acc_f32_f16 v152, v3, v11
	ds_load_b128 v[0:3], v178 offset:8704
	s_waitcnt lgkmcnt(2)
	v_dot2acc_f32_f16 v119, v12, v8
	v_dot2acc_f32_f16 v113, v12, v4
	v_dual_dot2acc_f32_f16 v112, v12, v5 :: v_dual_dot2acc_f32_f16 v127, v13, v10
	v_dual_dot2acc_f32_f16 v114, v12, v6 :: v_dual_dot2acc_f32_f16 v125, v13, v9
	v_dot2acc_f32_f16 v115, v12, v7
	v_dot2acc_f32_f16 v117, v13, v4
	v_dual_dot2acc_f32_f16 v118, v13, v5 :: v_dual_dot2acc_f32_f16 v121, v12, v10
	v_dot2acc_f32_f16 v123, v13, v6
	v_dual_dot2acc_f32_f16 v124, v13, v7 :: v_dual_dot2acc_f32_f16 v149, v14, v10
	v_dual_dot2acc_f32_f16 v132, v14, v4 :: v_dual_dot2acc_f32_f16 v129, v13, v11
	v_dual_dot2acc_f32_f16 v128, v14, v5 :: v_dual_dot2acc_f32_f16 v161, v15, v8
	v_dot2acc_f32_f16 v133, v14, v6
	v_dual_dot2acc_f32_f16 v134, v14, v7 :: v_dual_dot2acc_f32_f16 v163, v15, v10
	v_dot2acc_f32_f16 v153, v15, v4
	v_dual_dot2acc_f32_f16 v150, v15, v5 :: v_dual_dot2acc_f32_f16 v155, v14, v11
	s_waitcnt lgkmcnt(0)
	v_dual_dot2acc_f32_f16 v156, v15, v6 :: v_dual_dot2acc_f32_f16 v165, v0, v16
	v_dual_dot2acc_f32_f16 v158, v15, v7 :: v_dual_dot2acc_f32_f16 v143, v1, v16
	v_dual_dot2acc_f32_f16 v120, v12, v9 :: v_dual_dot2acc_f32_f16 v145, v1, v18
	v_dual_dot2acc_f32_f16 v122, v12, v11 :: v_dual_dot2acc_f32_f16 v141, v1, v17
	v_dual_dot2acc_f32_f16 v126, v13, v8 :: v_dual_dot2acc_f32_f16 v139, v2, v18
	v_dual_dot2acc_f32_f16 v144, v14, v8 :: v_dual_dot2acc_f32_f16 v147, v1, v19
	v_dual_dot2acc_f32_f16 v142, v14, v9 :: v_dual_dot2acc_f32_f16 v135, v3, v18
	v_dual_dot2acc_f32_f16 v162, v15, v9 :: v_dual_dot2acc_f32_f16 v137, v2, v16
	ds_load_b128 v[4:7], v179 offset:25344
	v_dot2acc_f32_f16 v116, v15, v11
	ds_load_b128 v[8:11], v178 offset:8960
	v_dual_dot2acc_f32_f16 v166, v0, v18 :: v_dual_dot2acc_f32_f16 v131, v3, v17
	ds_load_b128 v[12:15], v179 offset:25600
	v_dot2acc_f32_f16 v164, v0, v17
	v_dot2acc_f32_f16 v168, v0, v19
	v_dot2acc_f32_f16 v138, v2, v17
	v_dot2acc_f32_f16 v140, v2, v19
	v_dot2acc_f32_f16 v130, v3, v16
	s_waitcnt lgkmcnt(2)
	v_dual_dot2acc_f32_f16 v136, v3, v19 :: v_dual_dot2acc_f32_f16 v157, v2, v4
	v_dual_dot2acc_f32_f16 v170, v0, v4 :: v_dual_dot2acc_f32_f16 v159, v2, v6
	v_dot2acc_f32_f16 v172, v0, v5
	v_dot2acc_f32_f16 v174, v0, v6
	v_dot2acc_f32_f16 v175, v0, v7
	v_dot2acc_f32_f16 v169, v1, v4
	v_dot2acc_f32_f16 v167, v1, v5
	v_dot2acc_f32_f16 v171, v1, v6
	v_dual_dot2acc_f32_f16 v173, v1, v7 :: v_dual_dot2acc_f32_f16 v154, v2, v5
	v_dot2acc_f32_f16 v160, v2, v7
	v_dot2acc_f32_f16 v148, v3, v4
	v_dot2acc_f32_f16 v146, v3, v5
	v_dot2acc_f32_f16 v151, v3, v6
	v_dot2acc_f32_f16 v152, v3, v7
	ds_load_b128 v[0:3], v178 offset:9216
	s_waitcnt lgkmcnt(2)
	v_dot2acc_f32_f16 v119, v8, v4
	v_dot2acc_f32_f16 v113, v8, v16
	v_dual_dot2acc_f32_f16 v112, v8, v17 :: v_dual_dot2acc_f32_f16 v127, v9, v6
	v_dual_dot2acc_f32_f16 v114, v8, v18 :: v_dual_dot2acc_f32_f16 v125, v9, v5
	v_dot2acc_f32_f16 v115, v8, v19
	v_dot2acc_f32_f16 v117, v9, v16
	v_dual_dot2acc_f32_f16 v118, v9, v17 :: v_dual_dot2acc_f32_f16 v121, v8, v6
	v_dot2acc_f32_f16 v123, v9, v18
	v_dual_dot2acc_f32_f16 v124, v9, v19 :: v_dual_dot2acc_f32_f16 v149, v10, v6
	v_dual_dot2acc_f32_f16 v132, v10, v16 :: v_dual_dot2acc_f32_f16 v129, v9, v7
	v_dual_dot2acc_f32_f16 v128, v10, v17 :: v_dual_dot2acc_f32_f16 v161, v11, v4
	v_dot2acc_f32_f16 v133, v10, v18
	v_dual_dot2acc_f32_f16 v134, v10, v19 :: v_dual_dot2acc_f32_f16 v163, v11, v6
	v_dot2acc_f32_f16 v153, v11, v16
	v_dual_dot2acc_f32_f16 v150, v11, v17 :: v_dual_dot2acc_f32_f16 v155, v10, v7
	s_waitcnt lgkmcnt(0)
	v_dual_dot2acc_f32_f16 v156, v11, v18 :: v_dual_dot2acc_f32_f16 v165, v0, v12
	v_dual_dot2acc_f32_f16 v158, v11, v19 :: v_dual_dot2acc_f32_f16 v143, v1, v12
	v_dual_dot2acc_f32_f16 v120, v8, v5 :: v_dual_dot2acc_f32_f16 v145, v1, v14
	v_dual_dot2acc_f32_f16 v122, v8, v7 :: v_dual_dot2acc_f32_f16 v141, v1, v13
	v_dual_dot2acc_f32_f16 v126, v9, v4 :: v_dual_dot2acc_f32_f16 v139, v2, v14
	v_dual_dot2acc_f32_f16 v144, v10, v4 :: v_dual_dot2acc_f32_f16 v147, v1, v15
	v_dual_dot2acc_f32_f16 v142, v10, v5 :: v_dual_dot2acc_f32_f16 v135, v3, v14
	v_dual_dot2acc_f32_f16 v162, v11, v5 :: v_dual_dot2acc_f32_f16 v137, v2, v12
	ds_load_b128 v[16:19], v179 offset:25856
	v_dot2acc_f32_f16 v116, v11, v7
	ds_load_b128 v[4:7], v178 offset:9472
	v_dual_dot2acc_f32_f16 v166, v0, v14 :: v_dual_dot2acc_f32_f16 v131, v3, v13
	ds_load_b128 v[8:11], v179 offset:26112
	v_dot2acc_f32_f16 v164, v0, v13
	v_dot2acc_f32_f16 v168, v0, v15
	v_dot2acc_f32_f16 v138, v2, v13
	v_dot2acc_f32_f16 v140, v2, v15
	v_dot2acc_f32_f16 v130, v3, v12
	s_waitcnt lgkmcnt(2)
	v_dual_dot2acc_f32_f16 v136, v3, v15 :: v_dual_dot2acc_f32_f16 v157, v2, v16
	v_dual_dot2acc_f32_f16 v170, v0, v16 :: v_dual_dot2acc_f32_f16 v159, v2, v18
	v_dot2acc_f32_f16 v172, v0, v17
	v_dot2acc_f32_f16 v174, v0, v18
	v_dot2acc_f32_f16 v175, v0, v19
	v_dot2acc_f32_f16 v169, v1, v16
	v_dot2acc_f32_f16 v167, v1, v17
	v_dot2acc_f32_f16 v171, v1, v18
	v_dual_dot2acc_f32_f16 v173, v1, v19 :: v_dual_dot2acc_f32_f16 v154, v2, v17
	v_dot2acc_f32_f16 v160, v2, v19
	v_dot2acc_f32_f16 v148, v3, v16
	v_dot2acc_f32_f16 v146, v3, v17
	v_dot2acc_f32_f16 v151, v3, v18
	v_dot2acc_f32_f16 v152, v3, v19
	;; [unrolled: 51-line block ×13, first 2 shown]
	ds_load_b128 v[0:3], v178 offset:15360
	s_waitcnt lgkmcnt(2)
	v_dot2acc_f32_f16 v119, v4, v8
	v_dot2acc_f32_f16 v113, v4, v16
	v_dual_dot2acc_f32_f16 v112, v4, v17 :: v_dual_dot2acc_f32_f16 v127, v5, v10
	v_dual_dot2acc_f32_f16 v114, v4, v18 :: v_dual_dot2acc_f32_f16 v125, v5, v9
	v_dot2acc_f32_f16 v115, v4, v19
	v_dot2acc_f32_f16 v117, v5, v16
	v_dual_dot2acc_f32_f16 v118, v5, v17 :: v_dual_dot2acc_f32_f16 v121, v4, v10
	v_dot2acc_f32_f16 v123, v5, v18
	v_dual_dot2acc_f32_f16 v124, v5, v19 :: v_dual_dot2acc_f32_f16 v149, v6, v10
	v_dual_dot2acc_f32_f16 v132, v6, v16 :: v_dual_dot2acc_f32_f16 v129, v5, v11
	;; [unrolled: 1-line block ×3, first 2 shown]
	v_dot2acc_f32_f16 v133, v6, v18
	v_dual_dot2acc_f32_f16 v134, v6, v19 :: v_dual_dot2acc_f32_f16 v163, v7, v10
	v_dot2acc_f32_f16 v153, v7, v16
	v_dual_dot2acc_f32_f16 v150, v7, v17 :: v_dual_dot2acc_f32_f16 v155, v6, v11
	s_waitcnt lgkmcnt(0)
	v_dual_dot2acc_f32_f16 v156, v7, v18 :: v_dual_dot2acc_f32_f16 v165, v0, v12
	v_dual_dot2acc_f32_f16 v158, v7, v19 :: v_dual_dot2acc_f32_f16 v143, v1, v12
	;; [unrolled: 1-line block ×8, first 2 shown]
	ds_load_b128 v[16:19], v179 offset:32000
	v_dot2acc_f32_f16 v116, v7, v11
	ds_load_b128 v[4:7], v178 offset:15616
	v_dot2acc_f32_f16 v164, v0, v13
	v_dual_dot2acc_f32_f16 v166, v0, v14 :: v_dual_dot2acc_f32_f16 v131, v3, v13
	v_dot2acc_f32_f16 v168, v0, v15
	v_dot2acc_f32_f16 v138, v2, v13
	v_dot2acc_f32_f16 v140, v2, v15
	v_dot2acc_f32_f16 v130, v3, v12
	v_dot2acc_f32_f16 v136, v3, v15
	ds_load_b128 v[8:11], v179 offset:32256
	s_waitcnt lgkmcnt(2)
	v_dual_dot2acc_f32_f16 v170, v0, v16 :: v_dual_dot2acc_f32_f16 v159, v2, v18
	v_dot2acc_f32_f16 v172, v0, v17
	v_dot2acc_f32_f16 v174, v0, v18
	;; [unrolled: 1-line block ×14, first 2 shown]
	ds_load_b128 v[0:3], v178 offset:15872
	s_waitcnt lgkmcnt(2)
	v_dot2acc_f32_f16 v119, v4, v16
	v_dot2acc_f32_f16 v113, v4, v12
	v_dual_dot2acc_f32_f16 v112, v4, v13 :: v_dual_dot2acc_f32_f16 v127, v5, v18
	v_dual_dot2acc_f32_f16 v114, v4, v14 :: v_dual_dot2acc_f32_f16 v125, v5, v17
	v_dot2acc_f32_f16 v115, v4, v15
	v_dot2acc_f32_f16 v117, v5, v12
	v_dual_dot2acc_f32_f16 v118, v5, v13 :: v_dual_dot2acc_f32_f16 v121, v4, v18
	v_dot2acc_f32_f16 v123, v5, v14
	v_dual_dot2acc_f32_f16 v124, v5, v15 :: v_dual_dot2acc_f32_f16 v149, v6, v18
	v_dual_dot2acc_f32_f16 v132, v6, v12 :: v_dual_dot2acc_f32_f16 v129, v5, v19
	;; [unrolled: 1-line block ×3, first 2 shown]
	v_dot2acc_f32_f16 v133, v6, v14
	v_dual_dot2acc_f32_f16 v134, v6, v15 :: v_dual_dot2acc_f32_f16 v163, v7, v18
	v_dot2acc_f32_f16 v153, v7, v12
	v_dual_dot2acc_f32_f16 v150, v7, v13 :: v_dual_dot2acc_f32_f16 v155, v6, v19
	v_dot2acc_f32_f16 v156, v7, v14
	v_dot2acc_f32_f16 v158, v7, v15
	ds_load_b128 v[12:15], v179 offset:32512
	v_dot2acc_f32_f16 v120, v4, v17
	v_dot2acc_f32_f16 v122, v4, v19
	;; [unrolled: 1-line block ×7, first 2 shown]
	ds_load_b128 v[4:7], v178 offset:16128
	s_waitcnt lgkmcnt(2)
	v_dot2acc_f32_f16 v165, v0, v8
	v_dot2acc_f32_f16 v164, v0, v9
	v_dual_dot2acc_f32_f16 v166, v0, v10 :: v_dual_dot2acc_f32_f16 v131, v3, v9
	v_dot2acc_f32_f16 v168, v0, v11
	v_dual_dot2acc_f32_f16 v138, v2, v9 :: v_dual_dot2acc_f32_f16 v143, v1, v8
	v_dot2acc_f32_f16 v141, v1, v9
	v_dot2acc_f32_f16 v145, v1, v10
	;; [unrolled: 1-line block ×4, first 2 shown]
	s_waitcnt lgkmcnt(1)
	v_dot2acc_f32_f16 v175, v0, v15
	v_dual_dot2acc_f32_f16 v170, v0, v12 :: v_dual_dot2acc_f32_f16 v159, v2, v14
	v_dot2acc_f32_f16 v172, v0, v13
	v_dot2acc_f32_f16 v174, v0, v14
	v_dual_dot2acc_f32_f16 v139, v2, v10 :: v_dual_add_nc_u32 v0, s3, v177
	v_dual_dot2acc_f32_f16 v140, v2, v11 :: v_dual_dot2acc_f32_f16 v151, v3, v14
	v_dual_dot2acc_f32_f16 v130, v3, v8 :: v_dual_dot2acc_f32_f16 v173, v1, v15
	s_delay_alu instid0(VALU_DEP_3)
	v_mul_lo_u32 v0, v0, s12
	v_dot2acc_f32_f16 v135, v3, v10
	v_dual_dot2acc_f32_f16 v136, v3, v11 :: v_dual_dot2acc_f32_f16 v157, v2, v12
	v_dot2acc_f32_f16 v169, v1, v12
	v_dot2acc_f32_f16 v167, v1, v13
	v_dual_dot2acc_f32_f16 v171, v1, v14 :: v_dual_dot2acc_f32_f16 v154, v2, v13
	s_waitcnt lgkmcnt(0)
	v_dual_dot2acc_f32_f16 v113, v4, v8 :: v_dual_dot2acc_f32_f16 v160, v2, v15
	v_dual_dot2acc_f32_f16 v123, v5, v10 :: v_dual_dot2acc_f32_f16 v148, v3, v12
	;; [unrolled: 1-line block ×4, first 2 shown]
	v_dot2acc_f32_f16 v119, v4, v12
	v_dual_dot2acc_f32_f16 v112, v4, v9 :: v_dual_dot2acc_f32_f16 v127, v5, v14
	v_dual_dot2acc_f32_f16 v114, v4, v10 :: v_dual_dot2acc_f32_f16 v125, v5, v13
	v_dot2acc_f32_f16 v117, v5, v8
	v_dual_dot2acc_f32_f16 v118, v5, v9 :: v_dual_dot2acc_f32_f16 v121, v4, v14
	v_dual_dot2acc_f32_f16 v124, v5, v11 :: v_dual_dot2acc_f32_f16 v149, v6, v14
	;; [unrolled: 1-line block ×3, first 2 shown]
	v_dot2acc_f32_f16 v120, v4, v13
	v_dot2acc_f32_f16 v122, v4, v15
	;; [unrolled: 1-line block ×3, first 2 shown]
	v_cvt_f16_f32_e64 v2, v165
	v_cvt_f16_f32_e64 v1, v166
	;; [unrolled: 1-line block ×4, first 2 shown]
	v_add3_u32 v5, s2, v176, v0
	v_dual_dot2acc_f32_f16 v153, v7, v8 :: v_dual_dot2acc_f32_f16 v128, v6, v9
	v_dot2acc_f32_f16 v161, v7, v12
	v_pack_b32_f16 v1, v1, v3
	v_pack_b32_f16 v0, v2, v4
	v_lshlrev_b32_e32 v2, 1, v5
	v_add_nc_u32_e32 v4, 64, v5
	v_cvt_f16_f32_e64 v3, v175
	v_dual_dot2acc_f32_f16 v134, v6, v11 :: v_dual_dot2acc_f32_f16 v163, v7, v14
	buffer_store_b64 v[0:1], v2, s[8:11], 0 offen
	v_cvt_f16_f32_e64 v0, v170
	v_cvt_f16_f32_e64 v2, v172
	v_cvt_f16_f32_e64 v1, v174
	v_dual_dot2acc_f32_f16 v150, v7, v9 :: v_dual_dot2acc_f32_f16 v155, v6, v15
	v_dot2acc_f32_f16 v156, v7, v10
	v_dot2acc_f32_f16 v158, v7, v11
	;; [unrolled: 1-line block ×6, first 2 shown]
	v_cvt_f16_f32_e64 v6, v169
	v_cvt_f16_f32_e64 v7, v171
	;; [unrolled: 1-line block ×4, first 2 shown]
	v_pack_b32_f16 v1, v1, v3
	v_pack_b32_f16 v0, v0, v2
	v_lshlrev_b32_e32 v10, 1, v4
	v_pack_b32_f16 v3, v7, v8
	v_pack_b32_f16 v2, v6, v9
	v_add_lshl_u32 v4, v4, s12, 1
	v_cvt_f16_f32_e64 v7, v145
	v_cvt_f16_f32_e64 v8, v147
	s_clause 0x1
	buffer_store_b64 v[0:1], v10, s[8:11], 0 offen
	buffer_store_b64 v[2:3], v4, s[8:11], 0 offen
	v_add_nc_u32_e32 v2, s12, v5
	v_cvt_f16_f32_e64 v6, v143
	v_cvt_f16_f32_e64 v9, v141
	v_pack_b32_f16 v1, v7, v8
	v_cvt_f16_f32_e64 v3, v139
	v_cvt_f16_f32_e64 v4, v140
	v_add_nc_u32_e32 v7, s12, v2
	v_pack_b32_f16 v0, v6, v9
	v_lshlrev_b32_e32 v6, 1, v2
	v_cvt_f16_f32_e64 v2, v137
	v_cvt_f16_f32_e64 v5, v138
	v_pack_b32_f16 v3, v3, v4
	v_cvt_f16_f32_e64 v4, v157
	v_cvt_f16_f32_e64 v8, v159
	;; [unrolled: 1-line block ×4, first 2 shown]
	v_add_nc_u32_e32 v11, 64, v7
	v_pack_b32_f16 v2, v2, v5
	v_lshlrev_b32_e32 v12, 1, v7
	v_pack_b32_f16 v5, v8, v9
	v_pack_b32_f16 v4, v4, v10
	v_lshlrev_b32_e32 v8, 1, v11
	v_cvt_f16_f32_e64 v9, v148
	v_cvt_f16_f32_e64 v10, v151
	;; [unrolled: 1-line block ×4, first 2 shown]
	s_clause 0x2
	buffer_store_b64 v[0:1], v6, s[8:11], 0 offen
	buffer_store_b64 v[2:3], v12, s[8:11], 0 offen
	;; [unrolled: 1-line block ×3, first 2 shown]
	v_add_nc_u32_e32 v4, s12, v7
	v_cvt_f16_f32_e64 v2, v135
	v_cvt_f16_f32_e64 v3, v136
	;; [unrolled: 1-line block ×4, first 2 shown]
	v_pack_b32_f16 v1, v10, v13
	v_pack_b32_f16 v0, v9, v14
	v_add_lshl_u32 v6, v11, s12, 1
	v_cvt_f16_f32_e64 v8, v153
	v_cvt_f16_f32_e64 v9, v156
	;; [unrolled: 1-line block ×4, first 2 shown]
	v_lshl_add_u32 v12, s12, 6, v4
	v_pack_b32_f16 v3, v2, v3
	v_pack_b32_f16 v2, v5, v7
	v_lshlrev_b32_e32 v7, 1, v4
	v_pack_b32_f16 v5, v9, v10
	v_pack_b32_f16 v4, v8, v11
	v_lshlrev_b32_e32 v8, 1, v12
	s_clause 0x1
	buffer_store_b64 v[0:1], v6, s[8:11], 0 offen
	buffer_store_b64 v[2:3], v7, s[8:11], 0 offen
	v_add_nc_u32_e32 v2, 64, v12
	v_cvt_f16_f32_e64 v0, v163
	v_cvt_f16_f32_e32 v1, v116
	buffer_store_b64 v[4:5], v8, s[8:11], 0 offen
	v_cvt_f16_f32_e64 v3, v161
	v_cvt_f16_f32_e64 v4, v162
	;; [unrolled: 1-line block ×6, first 2 shown]
	v_subrev_nc_u32_e32 v9, s12, v2
	v_pack_b32_f16 v1, v0, v1
	v_pack_b32_f16 v0, v3, v4
	v_lshlrev_b32_e32 v4, 1, v2
	v_pack_b32_f16 v3, v6, v7
	v_pack_b32_f16 v2, v5, v8
	v_lshlrev_b32_e32 v5, 1, v9
	s_clause 0x1
	buffer_store_b64 v[0:1], v4, s[8:11], 0 offen
	buffer_store_b64 v[2:3], v5, s[8:11], 0 offen
	v_subrev_nc_u32_e32 v2, 64, v9
	v_cvt_f16_f32_e64 v6, v132
	v_cvt_f16_f32_e64 v10, v128
	;; [unrolled: 1-line block ×4, first 2 shown]
	v_subrev_nc_u32_e32 v5, s12, v2
	v_cvt_f16_f32_e32 v3, v123
	v_cvt_f16_f32_e32 v4, v124
	v_pack_b32_f16 v0, v6, v10
	v_lshlrev_b32_e32 v10, 1, v2
	v_cvt_f16_f32_e32 v2, v117
	v_cvt_f16_f32_e32 v6, v118
	v_add_nc_u32_e32 v11, 64, v5
	v_pack_b32_f16 v1, v7, v8
	v_pack_b32_f16 v3, v3, v4
	v_cvt_f16_f32_e32 v4, v126
	v_cvt_f16_f32_e32 v7, v127
	v_cvt_f16_f32_e64 v8, v129
	v_cvt_f16_f32_e32 v9, v125
	v_pack_b32_f16 v2, v2, v6
	v_subrev_nc_u32_e32 v6, s12, v11
	v_lshlrev_b32_e32 v12, 1, v5
	v_pack_b32_f16 v5, v7, v8
	v_pack_b32_f16 v4, v4, v9
	v_lshlrev_b32_e32 v13, 1, v11
	v_cvt_f16_f32_e32 v8, v119
	v_cvt_f16_f32_e32 v9, v120
	v_cvt_f16_f32_e32 v7, v121
	v_cvt_f16_f32_e32 v11, v122
	v_cvt_f16_f32_e32 v14, v113
	v_cvt_f16_f32_e32 v15, v114
	v_cvt_f16_f32_e32 v16, v115
	v_cvt_f16_f32_e32 v17, v112
	v_lshlrev_b32_e32 v18, 1, v6
	v_pack_b32_f16 v7, v7, v11
	v_pack_b32_f16 v6, v8, v9
	;; [unrolled: 1-line block ×4, first 2 shown]
	v_add_nc_u32_e32 v11, 0xffffff80, v18
	s_clause 0x4
	buffer_store_b64 v[0:1], v10, s[8:11], 0 offen
	buffer_store_b64 v[2:3], v12, s[8:11], 0 offen
	;; [unrolled: 1-line block ×5, first 2 shown]
	s_nop 0
	s_sendmsg sendmsg(MSG_DEALLOC_VGPRS)
	s_endpgm
	.section	.rodata,"a",@progbits
	.p2align	6, 0x0
	.amdhsa_kernel _ZN2ck19kernel_gemm_dl_v1r3INS_28GridwiseGemmDl_km_kn_mn_v1r3ILi256EDF16_fDF16_LNS_25InMemoryDataOperationEnumE0ENS_16TensorDescriptorINS_5TupleIJNS_5EmbedINS4_IJiiEEENS4_IJNS_17integral_constantIiLi1EEEiEEELb0EEENS_7UnMergeINS4_IJiNS7_IiLi2EEEEEELb0EEENS_11PassThroughIiEEEEENS4_IJNS_8SequenceIJLi0EEEENSI_IJLi2EEEENSI_IJLi1EEEEEEENS4_IJNSI_IJLi1ELi2EEEENSI_IJLi3ELi4EEEENSI_IJLi5EEEEEEENSI_IJLi3ELi5ELi4EEEElEENS3_INS4_IJNS5_IS6_NS4_IJiS8_EEELb0EEESE_SG_EEENS4_IJSJ_SL_SK_EEESQ_SR_lEENS3_INS4_IJSU_SG_SG_EEESW_NS4_IJSN_NSI_IJLi3EEEENSI_IJLi4EEEEEEESO_lEELi128ELi128ELi16ELi2ELi4ELi4ELi1ENSI_IJLi8ELi2EEEES13_NSI_IJLi2ELi1ELi4ELi2EEEENSI_IJLi8ELi1ELi32ELi1EEEENSI_IJLi0ELi3ELi1ELi2EEEES16_NSI_IJLi1ELi1ELi4ELi1EEEES16_NSI_IJLi1ELi1ELi4ELi2EEEES14_S15_S16_S16_S17_S16_S18_NSI_IJLi0ELi1ELi2ELi3ELi4ELi5EEEELi5ELi4EEEDF16_DF16_NS3_INS4_IJSA_SE_SG_SG_NSB_INS4_IJiNS7_IiLi128EEEEEELb0EEENSF_ISC_EEEEENS4_IJSJ_SK_SL_SZ_SP_S10_EEENS4_IJSN_SO_SP_NSI_IJLi6EEEENSI_IJLi7ELi8EEEENSI_IJLi9EEEEEEENSI_IJLi6ELi7ELi8ELi9EEEElEENS3_INS4_IJSU_SE_SG_SG_S1D_S1E_EEENS4_IJSJ_SL_SK_SZ_SP_S10_EEES1K_S1L_lEENS3_INS4_IJSU_SG_SG_NSB_INS4_IJiSC_NS7_IiLi64EEEEEELb0EEES1S_EEENS4_IJSJ_SL_SK_SZ_S10_EEENS4_IJSN_SZ_S10_NSI_IJLi5ELi6ELi7EEEENSI_IJLi8ELi9ELi10EEEEEEENSI_IJLi5ELi6ELi7ELi8ELi9ELi10EEEElEENS_31BlockToCTileMap_M00_N00_M01_N01ILi128ELi128ES12_Lb0EEELb0ELb1EEEvPKT0_S24_PT1_T2_T3_T4_T5_
		.amdhsa_group_segment_fixed_size 32768
		.amdhsa_private_segment_fixed_size 0
		.amdhsa_kernarg_size 328
		.amdhsa_user_sgpr_count 15
		.amdhsa_user_sgpr_dispatch_ptr 0
		.amdhsa_user_sgpr_queue_ptr 0
		.amdhsa_user_sgpr_kernarg_segment_ptr 1
		.amdhsa_user_sgpr_dispatch_id 0
		.amdhsa_user_sgpr_private_segment_size 0
		.amdhsa_wavefront_size32 1
		.amdhsa_uses_dynamic_stack 0
		.amdhsa_enable_private_segment 0
		.amdhsa_system_sgpr_workgroup_id_x 1
		.amdhsa_system_sgpr_workgroup_id_y 0
		.amdhsa_system_sgpr_workgroup_id_z 0
		.amdhsa_system_sgpr_workgroup_info 0
		.amdhsa_system_vgpr_workitem_id 0
		.amdhsa_next_free_vgpr 193
		.amdhsa_next_free_sgpr 29
		.amdhsa_reserve_vcc 0
		.amdhsa_float_round_mode_32 0
		.amdhsa_float_round_mode_16_64 0
		.amdhsa_float_denorm_mode_32 3
		.amdhsa_float_denorm_mode_16_64 3
		.amdhsa_dx10_clamp 1
		.amdhsa_ieee_mode 1
		.amdhsa_fp16_overflow 0
		.amdhsa_workgroup_processor_mode 1
		.amdhsa_memory_ordered 1
		.amdhsa_forward_progress 0
		.amdhsa_shared_vgpr_count 0
		.amdhsa_exception_fp_ieee_invalid_op 0
		.amdhsa_exception_fp_denorm_src 0
		.amdhsa_exception_fp_ieee_div_zero 0
		.amdhsa_exception_fp_ieee_overflow 0
		.amdhsa_exception_fp_ieee_underflow 0
		.amdhsa_exception_fp_ieee_inexact 0
		.amdhsa_exception_int_div_zero 0
	.end_amdhsa_kernel
	.section	.text._ZN2ck19kernel_gemm_dl_v1r3INS_28GridwiseGemmDl_km_kn_mn_v1r3ILi256EDF16_fDF16_LNS_25InMemoryDataOperationEnumE0ENS_16TensorDescriptorINS_5TupleIJNS_5EmbedINS4_IJiiEEENS4_IJNS_17integral_constantIiLi1EEEiEEELb0EEENS_7UnMergeINS4_IJiNS7_IiLi2EEEEEELb0EEENS_11PassThroughIiEEEEENS4_IJNS_8SequenceIJLi0EEEENSI_IJLi2EEEENSI_IJLi1EEEEEEENS4_IJNSI_IJLi1ELi2EEEENSI_IJLi3ELi4EEEENSI_IJLi5EEEEEEENSI_IJLi3ELi5ELi4EEEElEENS3_INS4_IJNS5_IS6_NS4_IJiS8_EEELb0EEESE_SG_EEENS4_IJSJ_SL_SK_EEESQ_SR_lEENS3_INS4_IJSU_SG_SG_EEESW_NS4_IJSN_NSI_IJLi3EEEENSI_IJLi4EEEEEEESO_lEELi128ELi128ELi16ELi2ELi4ELi4ELi1ENSI_IJLi8ELi2EEEES13_NSI_IJLi2ELi1ELi4ELi2EEEENSI_IJLi8ELi1ELi32ELi1EEEENSI_IJLi0ELi3ELi1ELi2EEEES16_NSI_IJLi1ELi1ELi4ELi1EEEES16_NSI_IJLi1ELi1ELi4ELi2EEEES14_S15_S16_S16_S17_S16_S18_NSI_IJLi0ELi1ELi2ELi3ELi4ELi5EEEELi5ELi4EEEDF16_DF16_NS3_INS4_IJSA_SE_SG_SG_NSB_INS4_IJiNS7_IiLi128EEEEEELb0EEENSF_ISC_EEEEENS4_IJSJ_SK_SL_SZ_SP_S10_EEENS4_IJSN_SO_SP_NSI_IJLi6EEEENSI_IJLi7ELi8EEEENSI_IJLi9EEEEEEENSI_IJLi6ELi7ELi8ELi9EEEElEENS3_INS4_IJSU_SE_SG_SG_S1D_S1E_EEENS4_IJSJ_SL_SK_SZ_SP_S10_EEES1K_S1L_lEENS3_INS4_IJSU_SG_SG_NSB_INS4_IJiSC_NS7_IiLi64EEEEEELb0EEES1S_EEENS4_IJSJ_SL_SK_SZ_S10_EEENS4_IJSN_SZ_S10_NSI_IJLi5ELi6ELi7EEEENSI_IJLi8ELi9ELi10EEEEEEENSI_IJLi5ELi6ELi7ELi8ELi9ELi10EEEElEENS_31BlockToCTileMap_M00_N00_M01_N01ILi128ELi128ES12_Lb0EEELb0ELb1EEEvPKT0_S24_PT1_T2_T3_T4_T5_,"axG",@progbits,_ZN2ck19kernel_gemm_dl_v1r3INS_28GridwiseGemmDl_km_kn_mn_v1r3ILi256EDF16_fDF16_LNS_25InMemoryDataOperationEnumE0ENS_16TensorDescriptorINS_5TupleIJNS_5EmbedINS4_IJiiEEENS4_IJNS_17integral_constantIiLi1EEEiEEELb0EEENS_7UnMergeINS4_IJiNS7_IiLi2EEEEEELb0EEENS_11PassThroughIiEEEEENS4_IJNS_8SequenceIJLi0EEEENSI_IJLi2EEEENSI_IJLi1EEEEEEENS4_IJNSI_IJLi1ELi2EEEENSI_IJLi3ELi4EEEENSI_IJLi5EEEEEEENSI_IJLi3ELi5ELi4EEEElEENS3_INS4_IJNS5_IS6_NS4_IJiS8_EEELb0EEESE_SG_EEENS4_IJSJ_SL_SK_EEESQ_SR_lEENS3_INS4_IJSU_SG_SG_EEESW_NS4_IJSN_NSI_IJLi3EEEENSI_IJLi4EEEEEEESO_lEELi128ELi128ELi16ELi2ELi4ELi4ELi1ENSI_IJLi8ELi2EEEES13_NSI_IJLi2ELi1ELi4ELi2EEEENSI_IJLi8ELi1ELi32ELi1EEEENSI_IJLi0ELi3ELi1ELi2EEEES16_NSI_IJLi1ELi1ELi4ELi1EEEES16_NSI_IJLi1ELi1ELi4ELi2EEEES14_S15_S16_S16_S17_S16_S18_NSI_IJLi0ELi1ELi2ELi3ELi4ELi5EEEELi5ELi4EEEDF16_DF16_NS3_INS4_IJSA_SE_SG_SG_NSB_INS4_IJiNS7_IiLi128EEEEEELb0EEENSF_ISC_EEEEENS4_IJSJ_SK_SL_SZ_SP_S10_EEENS4_IJSN_SO_SP_NSI_IJLi6EEEENSI_IJLi7ELi8EEEENSI_IJLi9EEEEEEENSI_IJLi6ELi7ELi8ELi9EEEElEENS3_INS4_IJSU_SE_SG_SG_S1D_S1E_EEENS4_IJSJ_SL_SK_SZ_SP_S10_EEES1K_S1L_lEENS3_INS4_IJSU_SG_SG_NSB_INS4_IJiSC_NS7_IiLi64EEEEEELb0EEES1S_EEENS4_IJSJ_SL_SK_SZ_S10_EEENS4_IJSN_SZ_S10_NSI_IJLi5ELi6ELi7EEEENSI_IJLi8ELi9ELi10EEEEEEENSI_IJLi5ELi6ELi7ELi8ELi9ELi10EEEElEENS_31BlockToCTileMap_M00_N00_M01_N01ILi128ELi128ES12_Lb0EEELb0ELb1EEEvPKT0_S24_PT1_T2_T3_T4_T5_,comdat
.Lfunc_end3:
	.size	_ZN2ck19kernel_gemm_dl_v1r3INS_28GridwiseGemmDl_km_kn_mn_v1r3ILi256EDF16_fDF16_LNS_25InMemoryDataOperationEnumE0ENS_16TensorDescriptorINS_5TupleIJNS_5EmbedINS4_IJiiEEENS4_IJNS_17integral_constantIiLi1EEEiEEELb0EEENS_7UnMergeINS4_IJiNS7_IiLi2EEEEEELb0EEENS_11PassThroughIiEEEEENS4_IJNS_8SequenceIJLi0EEEENSI_IJLi2EEEENSI_IJLi1EEEEEEENS4_IJNSI_IJLi1ELi2EEEENSI_IJLi3ELi4EEEENSI_IJLi5EEEEEEENSI_IJLi3ELi5ELi4EEEElEENS3_INS4_IJNS5_IS6_NS4_IJiS8_EEELb0EEESE_SG_EEENS4_IJSJ_SL_SK_EEESQ_SR_lEENS3_INS4_IJSU_SG_SG_EEESW_NS4_IJSN_NSI_IJLi3EEEENSI_IJLi4EEEEEEESO_lEELi128ELi128ELi16ELi2ELi4ELi4ELi1ENSI_IJLi8ELi2EEEES13_NSI_IJLi2ELi1ELi4ELi2EEEENSI_IJLi8ELi1ELi32ELi1EEEENSI_IJLi0ELi3ELi1ELi2EEEES16_NSI_IJLi1ELi1ELi4ELi1EEEES16_NSI_IJLi1ELi1ELi4ELi2EEEES14_S15_S16_S16_S17_S16_S18_NSI_IJLi0ELi1ELi2ELi3ELi4ELi5EEEELi5ELi4EEEDF16_DF16_NS3_INS4_IJSA_SE_SG_SG_NSB_INS4_IJiNS7_IiLi128EEEEEELb0EEENSF_ISC_EEEEENS4_IJSJ_SK_SL_SZ_SP_S10_EEENS4_IJSN_SO_SP_NSI_IJLi6EEEENSI_IJLi7ELi8EEEENSI_IJLi9EEEEEEENSI_IJLi6ELi7ELi8ELi9EEEElEENS3_INS4_IJSU_SE_SG_SG_S1D_S1E_EEENS4_IJSJ_SL_SK_SZ_SP_S10_EEES1K_S1L_lEENS3_INS4_IJSU_SG_SG_NSB_INS4_IJiSC_NS7_IiLi64EEEEEELb0EEES1S_EEENS4_IJSJ_SL_SK_SZ_S10_EEENS4_IJSN_SZ_S10_NSI_IJLi5ELi6ELi7EEEENSI_IJLi8ELi9ELi10EEEEEEENSI_IJLi5ELi6ELi7ELi8ELi9ELi10EEEElEENS_31BlockToCTileMap_M00_N00_M01_N01ILi128ELi128ES12_Lb0EEELb0ELb1EEEvPKT0_S24_PT1_T2_T3_T4_T5_, .Lfunc_end3-_ZN2ck19kernel_gemm_dl_v1r3INS_28GridwiseGemmDl_km_kn_mn_v1r3ILi256EDF16_fDF16_LNS_25InMemoryDataOperationEnumE0ENS_16TensorDescriptorINS_5TupleIJNS_5EmbedINS4_IJiiEEENS4_IJNS_17integral_constantIiLi1EEEiEEELb0EEENS_7UnMergeINS4_IJiNS7_IiLi2EEEEEELb0EEENS_11PassThroughIiEEEEENS4_IJNS_8SequenceIJLi0EEEENSI_IJLi2EEEENSI_IJLi1EEEEEEENS4_IJNSI_IJLi1ELi2EEEENSI_IJLi3ELi4EEEENSI_IJLi5EEEEEEENSI_IJLi3ELi5ELi4EEEElEENS3_INS4_IJNS5_IS6_NS4_IJiS8_EEELb0EEESE_SG_EEENS4_IJSJ_SL_SK_EEESQ_SR_lEENS3_INS4_IJSU_SG_SG_EEESW_NS4_IJSN_NSI_IJLi3EEEENSI_IJLi4EEEEEEESO_lEELi128ELi128ELi16ELi2ELi4ELi4ELi1ENSI_IJLi8ELi2EEEES13_NSI_IJLi2ELi1ELi4ELi2EEEENSI_IJLi8ELi1ELi32ELi1EEEENSI_IJLi0ELi3ELi1ELi2EEEES16_NSI_IJLi1ELi1ELi4ELi1EEEES16_NSI_IJLi1ELi1ELi4ELi2EEEES14_S15_S16_S16_S17_S16_S18_NSI_IJLi0ELi1ELi2ELi3ELi4ELi5EEEELi5ELi4EEEDF16_DF16_NS3_INS4_IJSA_SE_SG_SG_NSB_INS4_IJiNS7_IiLi128EEEEEELb0EEENSF_ISC_EEEEENS4_IJSJ_SK_SL_SZ_SP_S10_EEENS4_IJSN_SO_SP_NSI_IJLi6EEEENSI_IJLi7ELi8EEEENSI_IJLi9EEEEEEENSI_IJLi6ELi7ELi8ELi9EEEElEENS3_INS4_IJSU_SE_SG_SG_S1D_S1E_EEENS4_IJSJ_SL_SK_SZ_SP_S10_EEES1K_S1L_lEENS3_INS4_IJSU_SG_SG_NSB_INS4_IJiSC_NS7_IiLi64EEEEEELb0EEES1S_EEENS4_IJSJ_SL_SK_SZ_S10_EEENS4_IJSN_SZ_S10_NSI_IJLi5ELi6ELi7EEEENSI_IJLi8ELi9ELi10EEEEEEENSI_IJLi5ELi6ELi7ELi8ELi9ELi10EEEElEENS_31BlockToCTileMap_M00_N00_M01_N01ILi128ELi128ES12_Lb0EEELb0ELb1EEEvPKT0_S24_PT1_T2_T3_T4_T5_
                                        ; -- End function
	.section	.AMDGPU.csdata,"",@progbits
; Kernel info:
; codeLenInByte = 12008
; NumSgprs: 29
; NumVgprs: 193
; ScratchSize: 0
; MemoryBound: 0
; FloatMode: 240
; IeeeMode: 1
; LDSByteSize: 32768 bytes/workgroup (compile time only)
; SGPRBlocks: 3
; VGPRBlocks: 24
; NumSGPRsForWavesPerEU: 29
; NumVGPRsForWavesPerEU: 193
; Occupancy: 7
; WaveLimiterHint : 0
; COMPUTE_PGM_RSRC2:SCRATCH_EN: 0
; COMPUTE_PGM_RSRC2:USER_SGPR: 15
; COMPUTE_PGM_RSRC2:TRAP_HANDLER: 0
; COMPUTE_PGM_RSRC2:TGID_X_EN: 1
; COMPUTE_PGM_RSRC2:TGID_Y_EN: 0
; COMPUTE_PGM_RSRC2:TGID_Z_EN: 0
; COMPUTE_PGM_RSRC2:TIDIG_COMP_CNT: 0
	.section	.text._ZN2ck19kernel_gemm_dl_v1r3INS_28GridwiseGemmDl_km_kn_mn_v1r3ILi256EDF16_fDF16_LNS_25InMemoryDataOperationEnumE0ENS_16TensorDescriptorINS_5TupleIJNS_5EmbedINS4_IJiiEEENS4_IJNS_17integral_constantIiLi1EEEiEEELb0EEENS_7UnMergeINS4_IJiNS7_IiLi2EEEEEELb0EEENS_11PassThroughIiEEEEENS4_IJNS_8SequenceIJLi0EEEENSI_IJLi2EEEENSI_IJLi1EEEEEEENS4_IJNSI_IJLi1ELi2EEEENSI_IJLi3ELi4EEEENSI_IJLi5EEEEEEENSI_IJLi3ELi5ELi4EEEElEENS3_INS4_IJNS5_IS6_NS4_IJiS8_EEELb0EEESE_SG_EEENS4_IJSJ_SL_SK_EEESQ_SR_lEENS3_INS4_IJSU_SG_SG_EEESW_NS4_IJSN_NSI_IJLi3EEEENSI_IJLi4EEEEEEESO_lEELi128ELi128ELi16ELi2ELi4ELi4ELi1ENSI_IJLi8ELi2EEEES13_NSI_IJLi2ELi1ELi4ELi2EEEENSI_IJLi8ELi1ELi32ELi1EEEENSI_IJLi0ELi3ELi1ELi2EEEES16_NSI_IJLi1ELi1ELi4ELi1EEEES16_NSI_IJLi1ELi1ELi4ELi2EEEES14_S15_S16_S16_S17_S16_S18_NSI_IJLi0ELi1ELi2ELi3ELi4ELi5EEEELi5ELi4EEEDF16_DF16_NS3_INS4_IJSA_SE_SG_SG_NSB_INS4_IJiNS7_IiLi128EEEEEELb0EEENSF_ISC_EEEEENS4_IJSJ_SK_SL_SZ_SP_S10_EEENS4_IJSN_SO_SP_NSI_IJLi6EEEENSI_IJLi7ELi8EEEENSI_IJLi9EEEEEEENSI_IJLi6ELi7ELi8ELi9EEEElEENS3_INS4_IJSU_SE_SG_SG_S1D_S1E_EEENS4_IJSJ_SL_SK_SZ_SP_S10_EEES1K_S1L_lEENS3_INS4_IJSU_SG_SG_NSB_INS4_IJiSC_NS7_IiLi64EEEEEELb0EEES1S_EEENS4_IJSJ_SL_SK_SZ_S10_EEENS4_IJSN_SZ_S10_NSI_IJLi5ELi6ELi7EEEENSI_IJLi8ELi9ELi10EEEEEEENSI_IJLi5ELi6ELi7ELi8ELi9ELi10EEEElEENS_31BlockToCTileMap_M00_N00_M01_N01ILi128ELi128ES12_Lb0EEELb0ELb0EEEvPKT0_S24_PT1_T2_T3_T4_T5_,"axG",@progbits,_ZN2ck19kernel_gemm_dl_v1r3INS_28GridwiseGemmDl_km_kn_mn_v1r3ILi256EDF16_fDF16_LNS_25InMemoryDataOperationEnumE0ENS_16TensorDescriptorINS_5TupleIJNS_5EmbedINS4_IJiiEEENS4_IJNS_17integral_constantIiLi1EEEiEEELb0EEENS_7UnMergeINS4_IJiNS7_IiLi2EEEEEELb0EEENS_11PassThroughIiEEEEENS4_IJNS_8SequenceIJLi0EEEENSI_IJLi2EEEENSI_IJLi1EEEEEEENS4_IJNSI_IJLi1ELi2EEEENSI_IJLi3ELi4EEEENSI_IJLi5EEEEEEENSI_IJLi3ELi5ELi4EEEElEENS3_INS4_IJNS5_IS6_NS4_IJiS8_EEELb0EEESE_SG_EEENS4_IJSJ_SL_SK_EEESQ_SR_lEENS3_INS4_IJSU_SG_SG_EEESW_NS4_IJSN_NSI_IJLi3EEEENSI_IJLi4EEEEEEESO_lEELi128ELi128ELi16ELi2ELi4ELi4ELi1ENSI_IJLi8ELi2EEEES13_NSI_IJLi2ELi1ELi4ELi2EEEENSI_IJLi8ELi1ELi32ELi1EEEENSI_IJLi0ELi3ELi1ELi2EEEES16_NSI_IJLi1ELi1ELi4ELi1EEEES16_NSI_IJLi1ELi1ELi4ELi2EEEES14_S15_S16_S16_S17_S16_S18_NSI_IJLi0ELi1ELi2ELi3ELi4ELi5EEEELi5ELi4EEEDF16_DF16_NS3_INS4_IJSA_SE_SG_SG_NSB_INS4_IJiNS7_IiLi128EEEEEELb0EEENSF_ISC_EEEEENS4_IJSJ_SK_SL_SZ_SP_S10_EEENS4_IJSN_SO_SP_NSI_IJLi6EEEENSI_IJLi7ELi8EEEENSI_IJLi9EEEEEEENSI_IJLi6ELi7ELi8ELi9EEEElEENS3_INS4_IJSU_SE_SG_SG_S1D_S1E_EEENS4_IJSJ_SL_SK_SZ_SP_S10_EEES1K_S1L_lEENS3_INS4_IJSU_SG_SG_NSB_INS4_IJiSC_NS7_IiLi64EEEEEELb0EEES1S_EEENS4_IJSJ_SL_SK_SZ_S10_EEENS4_IJSN_SZ_S10_NSI_IJLi5ELi6ELi7EEEENSI_IJLi8ELi9ELi10EEEEEEENSI_IJLi5ELi6ELi7ELi8ELi9ELi10EEEElEENS_31BlockToCTileMap_M00_N00_M01_N01ILi128ELi128ES12_Lb0EEELb0ELb0EEEvPKT0_S24_PT1_T2_T3_T4_T5_,comdat
	.protected	_ZN2ck19kernel_gemm_dl_v1r3INS_28GridwiseGemmDl_km_kn_mn_v1r3ILi256EDF16_fDF16_LNS_25InMemoryDataOperationEnumE0ENS_16TensorDescriptorINS_5TupleIJNS_5EmbedINS4_IJiiEEENS4_IJNS_17integral_constantIiLi1EEEiEEELb0EEENS_7UnMergeINS4_IJiNS7_IiLi2EEEEEELb0EEENS_11PassThroughIiEEEEENS4_IJNS_8SequenceIJLi0EEEENSI_IJLi2EEEENSI_IJLi1EEEEEEENS4_IJNSI_IJLi1ELi2EEEENSI_IJLi3ELi4EEEENSI_IJLi5EEEEEEENSI_IJLi3ELi5ELi4EEEElEENS3_INS4_IJNS5_IS6_NS4_IJiS8_EEELb0EEESE_SG_EEENS4_IJSJ_SL_SK_EEESQ_SR_lEENS3_INS4_IJSU_SG_SG_EEESW_NS4_IJSN_NSI_IJLi3EEEENSI_IJLi4EEEEEEESO_lEELi128ELi128ELi16ELi2ELi4ELi4ELi1ENSI_IJLi8ELi2EEEES13_NSI_IJLi2ELi1ELi4ELi2EEEENSI_IJLi8ELi1ELi32ELi1EEEENSI_IJLi0ELi3ELi1ELi2EEEES16_NSI_IJLi1ELi1ELi4ELi1EEEES16_NSI_IJLi1ELi1ELi4ELi2EEEES14_S15_S16_S16_S17_S16_S18_NSI_IJLi0ELi1ELi2ELi3ELi4ELi5EEEELi5ELi4EEEDF16_DF16_NS3_INS4_IJSA_SE_SG_SG_NSB_INS4_IJiNS7_IiLi128EEEEEELb0EEENSF_ISC_EEEEENS4_IJSJ_SK_SL_SZ_SP_S10_EEENS4_IJSN_SO_SP_NSI_IJLi6EEEENSI_IJLi7ELi8EEEENSI_IJLi9EEEEEEENSI_IJLi6ELi7ELi8ELi9EEEElEENS3_INS4_IJSU_SE_SG_SG_S1D_S1E_EEENS4_IJSJ_SL_SK_SZ_SP_S10_EEES1K_S1L_lEENS3_INS4_IJSU_SG_SG_NSB_INS4_IJiSC_NS7_IiLi64EEEEEELb0EEES1S_EEENS4_IJSJ_SL_SK_SZ_S10_EEENS4_IJSN_SZ_S10_NSI_IJLi5ELi6ELi7EEEENSI_IJLi8ELi9ELi10EEEEEEENSI_IJLi5ELi6ELi7ELi8ELi9ELi10EEEElEENS_31BlockToCTileMap_M00_N00_M01_N01ILi128ELi128ES12_Lb0EEELb0ELb0EEEvPKT0_S24_PT1_T2_T3_T4_T5_ ; -- Begin function _ZN2ck19kernel_gemm_dl_v1r3INS_28GridwiseGemmDl_km_kn_mn_v1r3ILi256EDF16_fDF16_LNS_25InMemoryDataOperationEnumE0ENS_16TensorDescriptorINS_5TupleIJNS_5EmbedINS4_IJiiEEENS4_IJNS_17integral_constantIiLi1EEEiEEELb0EEENS_7UnMergeINS4_IJiNS7_IiLi2EEEEEELb0EEENS_11PassThroughIiEEEEENS4_IJNS_8SequenceIJLi0EEEENSI_IJLi2EEEENSI_IJLi1EEEEEEENS4_IJNSI_IJLi1ELi2EEEENSI_IJLi3ELi4EEEENSI_IJLi5EEEEEEENSI_IJLi3ELi5ELi4EEEElEENS3_INS4_IJNS5_IS6_NS4_IJiS8_EEELb0EEESE_SG_EEENS4_IJSJ_SL_SK_EEESQ_SR_lEENS3_INS4_IJSU_SG_SG_EEESW_NS4_IJSN_NSI_IJLi3EEEENSI_IJLi4EEEEEEESO_lEELi128ELi128ELi16ELi2ELi4ELi4ELi1ENSI_IJLi8ELi2EEEES13_NSI_IJLi2ELi1ELi4ELi2EEEENSI_IJLi8ELi1ELi32ELi1EEEENSI_IJLi0ELi3ELi1ELi2EEEES16_NSI_IJLi1ELi1ELi4ELi1EEEES16_NSI_IJLi1ELi1ELi4ELi2EEEES14_S15_S16_S16_S17_S16_S18_NSI_IJLi0ELi1ELi2ELi3ELi4ELi5EEEELi5ELi4EEEDF16_DF16_NS3_INS4_IJSA_SE_SG_SG_NSB_INS4_IJiNS7_IiLi128EEEEEELb0EEENSF_ISC_EEEEENS4_IJSJ_SK_SL_SZ_SP_S10_EEENS4_IJSN_SO_SP_NSI_IJLi6EEEENSI_IJLi7ELi8EEEENSI_IJLi9EEEEEEENSI_IJLi6ELi7ELi8ELi9EEEElEENS3_INS4_IJSU_SE_SG_SG_S1D_S1E_EEENS4_IJSJ_SL_SK_SZ_SP_S10_EEES1K_S1L_lEENS3_INS4_IJSU_SG_SG_NSB_INS4_IJiSC_NS7_IiLi64EEEEEELb0EEES1S_EEENS4_IJSJ_SL_SK_SZ_S10_EEENS4_IJSN_SZ_S10_NSI_IJLi5ELi6ELi7EEEENSI_IJLi8ELi9ELi10EEEEEEENSI_IJLi5ELi6ELi7ELi8ELi9ELi10EEEElEENS_31BlockToCTileMap_M00_N00_M01_N01ILi128ELi128ES12_Lb0EEELb0ELb0EEEvPKT0_S24_PT1_T2_T3_T4_T5_
	.globl	_ZN2ck19kernel_gemm_dl_v1r3INS_28GridwiseGemmDl_km_kn_mn_v1r3ILi256EDF16_fDF16_LNS_25InMemoryDataOperationEnumE0ENS_16TensorDescriptorINS_5TupleIJNS_5EmbedINS4_IJiiEEENS4_IJNS_17integral_constantIiLi1EEEiEEELb0EEENS_7UnMergeINS4_IJiNS7_IiLi2EEEEEELb0EEENS_11PassThroughIiEEEEENS4_IJNS_8SequenceIJLi0EEEENSI_IJLi2EEEENSI_IJLi1EEEEEEENS4_IJNSI_IJLi1ELi2EEEENSI_IJLi3ELi4EEEENSI_IJLi5EEEEEEENSI_IJLi3ELi5ELi4EEEElEENS3_INS4_IJNS5_IS6_NS4_IJiS8_EEELb0EEESE_SG_EEENS4_IJSJ_SL_SK_EEESQ_SR_lEENS3_INS4_IJSU_SG_SG_EEESW_NS4_IJSN_NSI_IJLi3EEEENSI_IJLi4EEEEEEESO_lEELi128ELi128ELi16ELi2ELi4ELi4ELi1ENSI_IJLi8ELi2EEEES13_NSI_IJLi2ELi1ELi4ELi2EEEENSI_IJLi8ELi1ELi32ELi1EEEENSI_IJLi0ELi3ELi1ELi2EEEES16_NSI_IJLi1ELi1ELi4ELi1EEEES16_NSI_IJLi1ELi1ELi4ELi2EEEES14_S15_S16_S16_S17_S16_S18_NSI_IJLi0ELi1ELi2ELi3ELi4ELi5EEEELi5ELi4EEEDF16_DF16_NS3_INS4_IJSA_SE_SG_SG_NSB_INS4_IJiNS7_IiLi128EEEEEELb0EEENSF_ISC_EEEEENS4_IJSJ_SK_SL_SZ_SP_S10_EEENS4_IJSN_SO_SP_NSI_IJLi6EEEENSI_IJLi7ELi8EEEENSI_IJLi9EEEEEEENSI_IJLi6ELi7ELi8ELi9EEEElEENS3_INS4_IJSU_SE_SG_SG_S1D_S1E_EEENS4_IJSJ_SL_SK_SZ_SP_S10_EEES1K_S1L_lEENS3_INS4_IJSU_SG_SG_NSB_INS4_IJiSC_NS7_IiLi64EEEEEELb0EEES1S_EEENS4_IJSJ_SL_SK_SZ_S10_EEENS4_IJSN_SZ_S10_NSI_IJLi5ELi6ELi7EEEENSI_IJLi8ELi9ELi10EEEEEEENSI_IJLi5ELi6ELi7ELi8ELi9ELi10EEEElEENS_31BlockToCTileMap_M00_N00_M01_N01ILi128ELi128ES12_Lb0EEELb0ELb0EEEvPKT0_S24_PT1_T2_T3_T4_T5_
	.p2align	8
	.type	_ZN2ck19kernel_gemm_dl_v1r3INS_28GridwiseGemmDl_km_kn_mn_v1r3ILi256EDF16_fDF16_LNS_25InMemoryDataOperationEnumE0ENS_16TensorDescriptorINS_5TupleIJNS_5EmbedINS4_IJiiEEENS4_IJNS_17integral_constantIiLi1EEEiEEELb0EEENS_7UnMergeINS4_IJiNS7_IiLi2EEEEEELb0EEENS_11PassThroughIiEEEEENS4_IJNS_8SequenceIJLi0EEEENSI_IJLi2EEEENSI_IJLi1EEEEEEENS4_IJNSI_IJLi1ELi2EEEENSI_IJLi3ELi4EEEENSI_IJLi5EEEEEEENSI_IJLi3ELi5ELi4EEEElEENS3_INS4_IJNS5_IS6_NS4_IJiS8_EEELb0EEESE_SG_EEENS4_IJSJ_SL_SK_EEESQ_SR_lEENS3_INS4_IJSU_SG_SG_EEESW_NS4_IJSN_NSI_IJLi3EEEENSI_IJLi4EEEEEEESO_lEELi128ELi128ELi16ELi2ELi4ELi4ELi1ENSI_IJLi8ELi2EEEES13_NSI_IJLi2ELi1ELi4ELi2EEEENSI_IJLi8ELi1ELi32ELi1EEEENSI_IJLi0ELi3ELi1ELi2EEEES16_NSI_IJLi1ELi1ELi4ELi1EEEES16_NSI_IJLi1ELi1ELi4ELi2EEEES14_S15_S16_S16_S17_S16_S18_NSI_IJLi0ELi1ELi2ELi3ELi4ELi5EEEELi5ELi4EEEDF16_DF16_NS3_INS4_IJSA_SE_SG_SG_NSB_INS4_IJiNS7_IiLi128EEEEEELb0EEENSF_ISC_EEEEENS4_IJSJ_SK_SL_SZ_SP_S10_EEENS4_IJSN_SO_SP_NSI_IJLi6EEEENSI_IJLi7ELi8EEEENSI_IJLi9EEEEEEENSI_IJLi6ELi7ELi8ELi9EEEElEENS3_INS4_IJSU_SE_SG_SG_S1D_S1E_EEENS4_IJSJ_SL_SK_SZ_SP_S10_EEES1K_S1L_lEENS3_INS4_IJSU_SG_SG_NSB_INS4_IJiSC_NS7_IiLi64EEEEEELb0EEES1S_EEENS4_IJSJ_SL_SK_SZ_S10_EEENS4_IJSN_SZ_S10_NSI_IJLi5ELi6ELi7EEEENSI_IJLi8ELi9ELi10EEEEEEENSI_IJLi5ELi6ELi7ELi8ELi9ELi10EEEElEENS_31BlockToCTileMap_M00_N00_M01_N01ILi128ELi128ES12_Lb0EEELb0ELb0EEEvPKT0_S24_PT1_T2_T3_T4_T5_,@function
_ZN2ck19kernel_gemm_dl_v1r3INS_28GridwiseGemmDl_km_kn_mn_v1r3ILi256EDF16_fDF16_LNS_25InMemoryDataOperationEnumE0ENS_16TensorDescriptorINS_5TupleIJNS_5EmbedINS4_IJiiEEENS4_IJNS_17integral_constantIiLi1EEEiEEELb0EEENS_7UnMergeINS4_IJiNS7_IiLi2EEEEEELb0EEENS_11PassThroughIiEEEEENS4_IJNS_8SequenceIJLi0EEEENSI_IJLi2EEEENSI_IJLi1EEEEEEENS4_IJNSI_IJLi1ELi2EEEENSI_IJLi3ELi4EEEENSI_IJLi5EEEEEEENSI_IJLi3ELi5ELi4EEEElEENS3_INS4_IJNS5_IS6_NS4_IJiS8_EEELb0EEESE_SG_EEENS4_IJSJ_SL_SK_EEESQ_SR_lEENS3_INS4_IJSU_SG_SG_EEESW_NS4_IJSN_NSI_IJLi3EEEENSI_IJLi4EEEEEEESO_lEELi128ELi128ELi16ELi2ELi4ELi4ELi1ENSI_IJLi8ELi2EEEES13_NSI_IJLi2ELi1ELi4ELi2EEEENSI_IJLi8ELi1ELi32ELi1EEEENSI_IJLi0ELi3ELi1ELi2EEEES16_NSI_IJLi1ELi1ELi4ELi1EEEES16_NSI_IJLi1ELi1ELi4ELi2EEEES14_S15_S16_S16_S17_S16_S18_NSI_IJLi0ELi1ELi2ELi3ELi4ELi5EEEELi5ELi4EEEDF16_DF16_NS3_INS4_IJSA_SE_SG_SG_NSB_INS4_IJiNS7_IiLi128EEEEEELb0EEENSF_ISC_EEEEENS4_IJSJ_SK_SL_SZ_SP_S10_EEENS4_IJSN_SO_SP_NSI_IJLi6EEEENSI_IJLi7ELi8EEEENSI_IJLi9EEEEEEENSI_IJLi6ELi7ELi8ELi9EEEElEENS3_INS4_IJSU_SE_SG_SG_S1D_S1E_EEENS4_IJSJ_SL_SK_SZ_SP_S10_EEES1K_S1L_lEENS3_INS4_IJSU_SG_SG_NSB_INS4_IJiSC_NS7_IiLi64EEEEEELb0EEES1S_EEENS4_IJSJ_SL_SK_SZ_S10_EEENS4_IJSN_SZ_S10_NSI_IJLi5ELi6ELi7EEEENSI_IJLi8ELi9ELi10EEEEEEENSI_IJLi5ELi6ELi7ELi8ELi9ELi10EEEElEENS_31BlockToCTileMap_M00_N00_M01_N01ILi128ELi128ES12_Lb0EEELb0ELb0EEEvPKT0_S24_PT1_T2_T3_T4_T5_: ; @_ZN2ck19kernel_gemm_dl_v1r3INS_28GridwiseGemmDl_km_kn_mn_v1r3ILi256EDF16_fDF16_LNS_25InMemoryDataOperationEnumE0ENS_16TensorDescriptorINS_5TupleIJNS_5EmbedINS4_IJiiEEENS4_IJNS_17integral_constantIiLi1EEEiEEELb0EEENS_7UnMergeINS4_IJiNS7_IiLi2EEEEEELb0EEENS_11PassThroughIiEEEEENS4_IJNS_8SequenceIJLi0EEEENSI_IJLi2EEEENSI_IJLi1EEEEEEENS4_IJNSI_IJLi1ELi2EEEENSI_IJLi3ELi4EEEENSI_IJLi5EEEEEEENSI_IJLi3ELi5ELi4EEEElEENS3_INS4_IJNS5_IS6_NS4_IJiS8_EEELb0EEESE_SG_EEENS4_IJSJ_SL_SK_EEESQ_SR_lEENS3_INS4_IJSU_SG_SG_EEESW_NS4_IJSN_NSI_IJLi3EEEENSI_IJLi4EEEEEEESO_lEELi128ELi128ELi16ELi2ELi4ELi4ELi1ENSI_IJLi8ELi2EEEES13_NSI_IJLi2ELi1ELi4ELi2EEEENSI_IJLi8ELi1ELi32ELi1EEEENSI_IJLi0ELi3ELi1ELi2EEEES16_NSI_IJLi1ELi1ELi4ELi1EEEES16_NSI_IJLi1ELi1ELi4ELi2EEEES14_S15_S16_S16_S17_S16_S18_NSI_IJLi0ELi1ELi2ELi3ELi4ELi5EEEELi5ELi4EEEDF16_DF16_NS3_INS4_IJSA_SE_SG_SG_NSB_INS4_IJiNS7_IiLi128EEEEEELb0EEENSF_ISC_EEEEENS4_IJSJ_SK_SL_SZ_SP_S10_EEENS4_IJSN_SO_SP_NSI_IJLi6EEEENSI_IJLi7ELi8EEEENSI_IJLi9EEEEEEENSI_IJLi6ELi7ELi8ELi9EEEElEENS3_INS4_IJSU_SE_SG_SG_S1D_S1E_EEENS4_IJSJ_SL_SK_SZ_SP_S10_EEES1K_S1L_lEENS3_INS4_IJSU_SG_SG_NSB_INS4_IJiSC_NS7_IiLi64EEEEEELb0EEES1S_EEENS4_IJSJ_SL_SK_SZ_S10_EEENS4_IJSN_SZ_S10_NSI_IJLi5ELi6ELi7EEEENSI_IJLi8ELi9ELi10EEEEEEENSI_IJLi5ELi6ELi7ELi8ELi9ELi10EEEElEENS_31BlockToCTileMap_M00_N00_M01_N01ILi128ELi128ES12_Lb0EEELb0ELb0EEEvPKT0_S24_PT1_T2_T3_T4_T5_
; %bb.0:
	s_clause 0x7
	s_load_b128 s[24:27], s[0:1], 0x11c
	s_load_b128 s[20:23], s[0:1], 0x130
	;; [unrolled: 1-line block ×3, first 2 shown]
	s_load_b32 s13, s[0:1], 0x24
	s_load_b32 s2, s[0:1], 0x50
	;; [unrolled: 1-line block ×3, first 2 shown]
	s_load_b128 s[8:11], s[0:1], 0x0
	s_load_b64 s[4:5], s[0:1], 0x10
	v_lshrrev_b32_e32 v1, 4, v0
	v_dual_mov_b32 v48, 0 :: v_dual_lshlrev_b32 v63, 2, v0
	v_mov_b32_e32 v50, 0
	s_mov_b32 s3, 0x31004000
	s_delay_alu instid0(VALU_DEP_3) | instskip(NEXT) | instid1(VALU_DEP_3)
	v_and_b32_e32 v49, 14, v1
	v_and_b32_e32 v40, 0x7c, v63
	v_dual_mov_b32 v30, 0 :: v_dual_mov_b32 v39, 0
	v_lshlrev_b32_e32 v16, 1, v0
	s_delay_alu instid0(VALU_DEP_4) | instskip(SKIP_2) | instid1(VALU_DEP_4)
	v_lshlrev_b32_e32 v1, 1, v49
	v_lshrrev_b32_e32 v45, 5, v0
	v_mov_b32_e32 v9, 0
	v_dual_mov_b32 v11, 0 :: v_dual_and_b32 v22, 0x1fc, v16
	s_waitcnt lgkmcnt(0)
	s_mul_hi_u32 s6, s27, s15
	v_mul_lo_u32 v2, s13, v1
	s_add_i32 s6, s15, s6
	v_mul_lo_u32 v1, s14, v1
	s_lshr_b32 s7, s6, s23
	s_clause 0x4
	s_load_b32 s23, s[0:1], 0x90
	s_load_b32 s12, s[0:1], 0xa0
	;; [unrolled: 1-line block ×5, first 2 shown]
	s_mul_hi_u32 s0, s7, s26
	s_mul_i32 s19, s7, s19
	s_add_i32 s0, s7, s0
	s_sub_i32 s15, s15, s19
	s_lshr_b32 s22, s0, s22
	s_lshl_b32 s2, s2, 1
	s_mul_hi_u32 s0, s22, s25
	s_mul_i32 s18, s22, s18
	s_add_i32 s25, s22, s0
	s_mov_b32 s0, s8
	s_lshr_b32 s8, s25, s21
	s_sub_i32 s7, s7, s18
	s_mul_hi_u32 s21, s8, s24
	v_and_b32_e32 v64, 0x1f8, v16
	s_add_i32 s19, s8, s21
	v_dual_mov_b32 v16, 0 :: v_dual_lshlrev_b32 v65, 6, v45
	s_lshr_b32 s19, s19, s20
	s_delay_alu instid0(VALU_DEP_2)
	v_sub_nc_u32_e32 v66, v22, v64
	s_mul_i32 s19, s19, s16
	s_mul_i32 s16, s8, s17
	s_sub_i32 s8, s8, s19
	s_sub_i32 s16, s22, s16
	s_waitcnt lgkmcnt(0)
	s_mul_i32 s8, s8, s27
	s_mul_i32 s16, s16, s1
	s_add_i32 s7, s7, s8
	s_add_i32 s15, s15, s16
	s_lshl_b32 s8, s7, 7
	s_lshl_b32 s7, s15, 7
	v_add3_u32 v2, v2, v40, s8
	v_add3_u32 v1, v1, v40, s7
	s_mov_b32 s1, s9
	s_lshl_b32 s9, s13, 1
	s_delay_alu instid0(VALU_DEP_2) | instskip(NEXT) | instid1(VALU_DEP_2)
	v_dual_mov_b32 v26, 0 :: v_dual_add_nc_u32 v3, s13, v2
	v_dual_mov_b32 v28, 0 :: v_dual_add_nc_u32 v5, s14, v1
	v_dual_mov_b32 v53, 0 :: v_dual_lshlrev_b32 v6, 1, v2
	s_delay_alu instid0(VALU_DEP_3)
	v_dual_mov_b32 v24, 0 :: v_dual_lshlrev_b32 v7, 1, v3
	v_add_lshl_u32 v3, v3, s9, 1
	s_lshl_b32 s15, s14, 1
	v_dual_mov_b32 v51, 0 :: v_dual_lshlrev_b32 v4, 1, v1
	v_add_lshl_u32 v2, s9, v2, 1
	v_dual_mov_b32 v29, 0 :: v_dual_lshlrev_b32 v8, 1, v5
	s_clause 0x3
	buffer_load_b64 v[61:62], v6, s[0:3], 0 offen
	buffer_load_b64 v[70:71], v7, s[0:3], 0 offen
	;; [unrolled: 1-line block ×4, first 2 shown]
	v_add_lshl_u32 v2, v5, s15, 1
	v_add_lshl_u32 v1, s15, v1, 1
	s_lshl_b32 s2, s23, 1
	s_mov_b32 s0, s10
	s_mov_b32 s1, s11
	s_clause 0x3
	buffer_load_b64 v[80:81], v4, s[0:3], 0 offen
	buffer_load_b64 v[82:83], v8, s[0:3], 0 offen
	;; [unrolled: 1-line block ×4, first 2 shown]
	v_sub_nc_u32_e32 v64, v64, v65
	v_dual_mov_b32 v5, 0 :: v_dual_mov_b32 v20, 0
	v_lshlrev_b32_e32 v67, 2, v40
	v_lshl_add_u32 v65, v45, 3, v66
	s_delay_alu instid0(VALU_DEP_4)
	v_and_or_b32 v64, v63, 4, v64
	v_dual_mov_b32 v40, 0 :: v_dual_mov_b32 v31, 0
	v_mov_b32_e32 v60, 0
	v_lshl_or_b32 v49, v49, 9, v67
	v_lshlrev_b32_e32 v66, 2, v65
	v_lshlrev_b32_e32 v67, 2, v64
	v_dual_mov_b32 v33, 0 :: v_dual_mov_b32 v54, 0
	v_dual_mov_b32 v25, 0 :: v_dual_mov_b32 v52, 0
	;; [unrolled: 1-line block ×21, first 2 shown]
	s_lshl_b32 s6, s6, 1
	s_waitcnt vmcnt(6)
	v_perm_b32 v69, v70, v61, 0x7060302
	v_perm_b32 v68, v70, v61, 0x5040100
	v_perm_b32 v70, v71, v62, 0x5040100
	v_perm_b32 v71, v71, v62, 0x7060302
	s_waitcnt vmcnt(4)
	v_perm_b32 v75, v77, v79, 0x7060302
	v_perm_b32 v73, v76, v78, 0x7060302
	v_perm_b32 v72, v76, v78, 0x5040100
	v_perm_b32 v74, v77, v79, 0x5040100
	;; [unrolled: 5-line block ×4, first 2 shown]
	ds_store_b128 v49, v[68:71]
	ds_store_b128 v49, v[72:75] offset:512
	ds_store_b128 v49, v[76:79] offset:16384
	;; [unrolled: 1-line block ×3, first 2 shown]
	s_waitcnt lgkmcnt(0)
	s_barrier
	buffer_gl0_inv
	v_mov_b32_e32 v49, 0
	ds_load_b128 v[68:71], v66
	ds_load_b128 v[72:75], v67 offset:16384
	ds_load_b128 v[76:79], v67 offset:16640
	ds_load_b128 v[80:83], v66 offset:256
	ds_load_b128 v[84:87], v67 offset:16896
	ds_load_b128 v[88:91], v67 offset:17152
	ds_load_b128 v[92:95], v66 offset:512
	ds_load_b128 v[96:99], v66 offset:768
	ds_load_b128 v[100:103], v67 offset:17408
	ds_load_b128 v[104:107], v67 offset:17664
	ds_load_b128 v[108:111], v66 offset:1024
	ds_load_b128 v[112:115], v66 offset:1280
	ds_load_b128 v[116:119], v67 offset:17920
	ds_load_b128 v[120:123], v67 offset:18176
	ds_load_b128 v[124:127], v66 offset:1536
	ds_load_b128 v[128:131], v66 offset:1792
	ds_load_b128 v[132:135], v66 offset:2048
	v_dual_mov_b32 v61, 0 :: v_dual_mov_b32 v62, 0
	s_waitcnt lgkmcnt(13)
	v_dual_mov_b32 v63, 0 :: v_dual_dot2acc_f32_f16 v8, v80, v76
	v_dot2acc_f32_f16 v9, v80, v77
	v_dot2acc_f32_f16 v10, v80, v78
	v_dual_dot2acc_f32_f16 v11, v80, v79 :: v_dual_dot2acc_f32_f16 v16, v81, v76
	v_dual_dot2acc_f32_f16 v0, v81, v77 :: v_dual_dot2acc_f32_f16 v37, v82, v76
	;; [unrolled: 1-line block ×5, first 2 shown]
	v_dot2acc_f32_f16 v50, v68, v72
	v_dual_dot2acc_f32_f16 v48, v68, v73 :: v_dual_dot2acc_f32_f16 v31, v69, v74
	v_dual_dot2acc_f32_f16 v51, v68, v74 :: v_dual_dot2acc_f32_f16 v30, v69, v72
	;; [unrolled: 1-line block ×21, first 2 shown]
	v_dot2acc_f32_f16 v39, v83, v72
	v_dot2acc_f32_f16 v35, v83, v73
	;; [unrolled: 1-line block ×3, first 2 shown]
	v_dual_dot2acc_f32_f16 v40, v82, v77 :: v_dual_dot2acc_f32_f16 v61, v83, v76
	s_waitcnt lgkmcnt(10)
	v_dual_dot2acc_f32_f16 v62, v83, v77 :: v_dual_dot2acc_f32_f16 v51, v92, v86
	v_dual_dot2acc_f32_f16 v63, v83, v78 :: v_dual_dot2acc_f32_f16 v50, v92, v84
	;; [unrolled: 1-line block ×3, first 2 shown]
	ds_load_b128 v[68:71], v67 offset:18432
	ds_load_b128 v[72:75], v67 offset:18688
	;; [unrolled: 1-line block ×4, first 2 shown]
	v_dual_dot2acc_f32_f16 v53, v92, v87 :: v_dual_dot2acc_f32_f16 v30, v93, v84
	v_dual_dot2acc_f32_f16 v29, v93, v85 :: v_dual_dot2acc_f32_f16 v28, v94, v87
	v_dual_dot2acc_f32_f16 v31, v93, v86 :: v_dual_dot2acc_f32_f16 v26, v94, v85
	v_dual_dot2acc_f32_f16 v33, v93, v87 :: v_dual_dot2acc_f32_f16 v46, v94, v90
	v_dual_dot2acc_f32_f16 v25, v94, v84 :: v_dual_dot2acc_f32_f16 v24, v95, v87
	v_dual_dot2acc_f32_f16 v27, v94, v86 :: v_dual_dot2acc_f32_f16 v60, v92, v91
	v_dual_dot2acc_f32_f16 v15, v95, v84 :: v_dual_dot2acc_f32_f16 v52, v93, v89
	v_dual_dot2acc_f32_f16 v17, v95, v85 :: v_dual_dot2acc_f32_f16 v54, v93, v88
	v_dual_dot2acc_f32_f16 v23, v95, v86 :: v_dual_dot2acc_f32_f16 v58, v93, v91
	v_dual_dot2acc_f32_f16 v55, v92, v88 :: v_dual_dot2acc_f32_f16 v56, v93, v90
	v_dual_dot2acc_f32_f16 v57, v92, v89 :: v_dual_dot2acc_f32_f16 v34, v95, v88
	v_dual_dot2acc_f32_f16 v59, v92, v90 :: v_dual_dot2acc_f32_f16 v32, v95, v89
	v_dual_dot2acc_f32_f16 v43, v94, v88 :: v_dual_dot2acc_f32_f16 v36, v95, v90
	v_dual_dot2acc_f32_f16 v41, v94, v89 :: v_dual_dot2acc_f32_f16 v38, v95, v91
	s_waitcnt lgkmcnt(13)
	v_dual_dot2acc_f32_f16 v47, v94, v91 :: v_dual_dot2acc_f32_f16 v2, v96, v84
	v_dual_dot2acc_f32_f16 v1, v96, v85 :: v_dual_dot2acc_f32_f16 v6, v97, v84
	v_dual_dot2acc_f32_f16 v3, v96, v86 :: v_dual_dot2acc_f32_f16 v18, v98, v84
	v_dual_dot2acc_f32_f16 v4, v96, v87 :: v_dual_dot2acc_f32_f16 v7, v97, v85
	v_dual_dot2acc_f32_f16 v12, v97, v86 :: v_dual_dot2acc_f32_f16 v21, v98, v87
	v_dual_dot2acc_f32_f16 v13, v97, v87 :: v_dual_dot2acc_f32_f16 v14, v98, v85
	v_dual_dot2acc_f32_f16 v19, v98, v86 :: v_dual_dot2acc_f32_f16 v44, v99, v87
	v_dual_dot2acc_f32_f16 v39, v99, v84 :: v_dual_dot2acc_f32_f16 v10, v96, v90
	v_dual_dot2acc_f32_f16 v35, v99, v85 :: v_dual_dot2acc_f32_f16 v8, v96, v88
	v_dual_dot2acc_f32_f16 v42, v99, v86 :: v_dual_dot2acc_f32_f16 v9, v96, v89
	v_dual_dot2acc_f32_f16 v11, v96, v91 :: v_dual_dot2acc_f32_f16 v16, v97, v88
	v_dual_dot2acc_f32_f16 v0, v97, v89 :: v_dual_dot2acc_f32_f16 v37, v98, v88
	v_dual_dot2acc_f32_f16 v20, v97, v90 :: v_dual_dot2acc_f32_f16 v49, v98, v91
	v_dual_dot2acc_f32_f16 v22, v97, v91 :: v_dual_dot2acc_f32_f16 v45, v98, v90
	v_dual_dot2acc_f32_f16 v40, v98, v89 :: v_dual_dot2acc_f32_f16 v61, v99, v88
	s_waitcnt lgkmcnt(10)
	v_dual_dot2acc_f32_f16 v62, v99, v89 :: v_dual_dot2acc_f32_f16 v51, v108, v102
	v_dual_dot2acc_f32_f16 v63, v99, v90 :: v_dual_dot2acc_f32_f16 v50, v108, v100
	v_dual_dot2acc_f32_f16 v5, v99, v91 :: v_dual_dot2acc_f32_f16 v48, v108, v101
	v_dual_dot2acc_f32_f16 v53, v108, v103 :: v_dual_dot2acc_f32_f16 v30, v109, v100
	v_dual_dot2acc_f32_f16 v29, v109, v101 :: v_dual_dot2acc_f32_f16 v28, v110, v103
	v_dual_dot2acc_f32_f16 v31, v109, v102 :: v_dual_dot2acc_f32_f16 v26, v110, v101
	v_dual_dot2acc_f32_f16 v33, v109, v103 :: v_dual_dot2acc_f32_f16 v46, v110, v106
	v_dual_dot2acc_f32_f16 v25, v110, v100 :: v_dual_dot2acc_f32_f16 v24, v111, v103
	v_dual_dot2acc_f32_f16 v27, v110, v102 :: v_dual_dot2acc_f32_f16 v60, v108, v107
	v_dual_dot2acc_f32_f16 v15, v111, v100 :: v_dual_dot2acc_f32_f16 v52, v109, v105
	v_dual_dot2acc_f32_f16 v17, v111, v101 :: v_dual_dot2acc_f32_f16 v54, v109, v104
	v_dual_dot2acc_f32_f16 v23, v111, v102 :: v_dual_dot2acc_f32_f16 v58, v109, v107
	v_dual_dot2acc_f32_f16 v55, v108, v104 :: v_dual_dot2acc_f32_f16 v56, v109, v106
	v_dual_dot2acc_f32_f16 v57, v108, v105 :: v_dual_dot2acc_f32_f16 v34, v111, v104
	v_dual_dot2acc_f32_f16 v59, v108, v106 :: v_dual_dot2acc_f32_f16 v32, v111, v105
	v_dual_dot2acc_f32_f16 v43, v110, v104 :: v_dual_dot2acc_f32_f16 v36, v111, v106
	v_dual_dot2acc_f32_f16 v41, v110, v105 :: v_dual_dot2acc_f32_f16 v38, v111, v107
	s_waitcnt lgkmcnt(9)
	v_dual_dot2acc_f32_f16 v47, v110, v107 :: v_dual_dot2acc_f32_f16 v2, v112, v100
	v_dual_dot2acc_f32_f16 v1, v112, v101 :: v_dual_dot2acc_f32_f16 v6, v113, v100
	v_dual_dot2acc_f32_f16 v3, v112, v102 :: v_dual_dot2acc_f32_f16 v18, v114, v100
	v_dual_dot2acc_f32_f16 v4, v112, v103 :: v_dual_dot2acc_f32_f16 v7, v113, v101
	v_dual_dot2acc_f32_f16 v12, v113, v102 :: v_dual_dot2acc_f32_f16 v21, v114, v103
	v_dual_dot2acc_f32_f16 v13, v113, v103 :: v_dual_dot2acc_f32_f16 v14, v114, v101
	v_dual_dot2acc_f32_f16 v19, v114, v102 :: v_dual_dot2acc_f32_f16 v44, v115, v103
	v_dual_dot2acc_f32_f16 v39, v115, v100 :: v_dual_dot2acc_f32_f16 v10, v112, v106
	v_dual_dot2acc_f32_f16 v35, v115, v101 :: v_dual_dot2acc_f32_f16 v8, v112, v104
	v_dual_dot2acc_f32_f16 v42, v115, v102 :: v_dual_dot2acc_f32_f16 v9, v112, v105
	v_dual_dot2acc_f32_f16 v11, v112, v107 :: v_dual_dot2acc_f32_f16 v16, v113, v104
	v_dual_dot2acc_f32_f16 v0, v113, v105 :: v_dual_dot2acc_f32_f16 v37, v114, v104
	v_dual_dot2acc_f32_f16 v20, v113, v106 :: v_dual_dot2acc_f32_f16 v49, v114, v107
	v_dual_dot2acc_f32_f16 v22, v113, v107 :: v_dual_dot2acc_f32_f16 v45, v114, v106
	v_dual_dot2acc_f32_f16 v40, v114, v105 :: v_dual_dot2acc_f32_f16 v61, v115, v104
	s_waitcnt lgkmcnt(6)
	v_dual_dot2acc_f32_f16 v62, v115, v105 :: v_dual_dot2acc_f32_f16 v51, v124, v118
	v_dual_dot2acc_f32_f16 v63, v115, v106 :: v_dual_dot2acc_f32_f16 v50, v124, v116
	v_dual_dot2acc_f32_f16 v5, v115, v107 :: v_dual_dot2acc_f32_f16 v48, v124, v117
	;; [unrolled: 34-line block ×3, first 2 shown]
	v_dual_dot2acc_f32_f16 v53, v132, v71 :: v_dual_dot2acc_f32_f16 v30, v133, v68
	v_dual_dot2acc_f32_f16 v29, v133, v69 :: v_dual_dot2acc_f32_f16 v28, v134, v71
	v_dual_dot2acc_f32_f16 v31, v133, v70 :: v_dual_dot2acc_f32_f16 v26, v134, v69
	s_waitcnt lgkmcnt(2)
	v_dual_dot2acc_f32_f16 v33, v133, v71 :: v_dual_dot2acc_f32_f16 v46, v134, v74
	v_dual_dot2acc_f32_f16 v25, v134, v68 :: v_dual_dot2acc_f32_f16 v24, v135, v71
	v_dual_dot2acc_f32_f16 v27, v134, v70 :: v_dual_dot2acc_f32_f16 v60, v132, v75
	v_dual_dot2acc_f32_f16 v15, v135, v68 :: v_dual_dot2acc_f32_f16 v52, v133, v73
	v_dual_dot2acc_f32_f16 v17, v135, v69 :: v_dual_dot2acc_f32_f16 v54, v133, v72
	v_dual_dot2acc_f32_f16 v23, v135, v70 :: v_dual_dot2acc_f32_f16 v58, v133, v75
	v_dual_dot2acc_f32_f16 v55, v132, v72 :: v_dual_dot2acc_f32_f16 v56, v133, v74
	v_dual_dot2acc_f32_f16 v57, v132, v73 :: v_dual_dot2acc_f32_f16 v34, v135, v72
	v_dual_dot2acc_f32_f16 v59, v132, v74 :: v_dual_dot2acc_f32_f16 v32, v135, v73
	v_dual_dot2acc_f32_f16 v43, v134, v72 :: v_dual_dot2acc_f32_f16 v36, v135, v74
	v_dual_dot2acc_f32_f16 v41, v134, v73 :: v_dual_dot2acc_f32_f16 v38, v135, v75
	s_waitcnt lgkmcnt(1)
	v_dual_dot2acc_f32_f16 v47, v134, v75 :: v_dual_dot2acc_f32_f16 v2, v76, v68
	v_dual_dot2acc_f32_f16 v1, v76, v69 :: v_dual_dot2acc_f32_f16 v6, v77, v68
	v_dual_dot2acc_f32_f16 v3, v76, v70 :: v_dual_dot2acc_f32_f16 v18, v78, v68
	v_dual_dot2acc_f32_f16 v4, v76, v71 :: v_dual_dot2acc_f32_f16 v7, v77, v69
	v_dual_dot2acc_f32_f16 v12, v77, v70 :: v_dual_dot2acc_f32_f16 v21, v78, v71
	v_dual_dot2acc_f32_f16 v13, v77, v71 :: v_dual_dot2acc_f32_f16 v14, v78, v69
	v_dual_dot2acc_f32_f16 v19, v78, v70 :: v_dual_dot2acc_f32_f16 v44, v79, v71
	v_dual_dot2acc_f32_f16 v39, v79, v68 :: v_dual_dot2acc_f32_f16 v10, v76, v74
	v_dual_dot2acc_f32_f16 v35, v79, v69 :: v_dual_dot2acc_f32_f16 v8, v76, v72
	v_dual_dot2acc_f32_f16 v42, v79, v70 :: v_dual_dot2acc_f32_f16 v9, v76, v73
	ds_load_b128 v[84:87], v67 offset:18944
	ds_load_b128 v[68:71], v67 offset:19200
	v_dual_dot2acc_f32_f16 v11, v76, v75 :: v_dual_dot2acc_f32_f16 v16, v77, v72
	v_dual_dot2acc_f32_f16 v0, v77, v73 :: v_dual_dot2acc_f32_f16 v37, v78, v72
	v_dual_dot2acc_f32_f16 v20, v77, v74 :: v_dual_dot2acc_f32_f16 v49, v78, v75
	v_dual_dot2acc_f32_f16 v22, v77, v75 :: v_dual_dot2acc_f32_f16 v45, v78, v74
	v_dual_dot2acc_f32_f16 v40, v78, v73 :: v_dual_dot2acc_f32_f16 v61, v79, v72
	v_dot2acc_f32_f16 v62, v79, v73
	v_dot2acc_f32_f16 v63, v79, v74
	v_dot2acc_f32_f16 v5, v79, v75
	ds_load_b128 v[72:75], v66 offset:2816
	ds_load_b128 v[76:79], v66 offset:3072
	s_waitcnt lgkmcnt(3)
	v_dot2acc_f32_f16 v50, v80, v84
	v_dot2acc_f32_f16 v48, v80, v85
	v_dot2acc_f32_f16 v51, v80, v86
	v_dual_dot2acc_f32_f16 v53, v80, v87 :: v_dual_dot2acc_f32_f16 v30, v81, v84
	v_dual_dot2acc_f32_f16 v29, v81, v85 :: v_dual_dot2acc_f32_f16 v28, v82, v87
	v_dual_dot2acc_f32_f16 v31, v81, v86 :: v_dual_dot2acc_f32_f16 v26, v82, v85
	s_waitcnt lgkmcnt(2)
	v_dual_dot2acc_f32_f16 v33, v81, v87 :: v_dual_dot2acc_f32_f16 v46, v82, v70
	v_dual_dot2acc_f32_f16 v25, v82, v84 :: v_dual_dot2acc_f32_f16 v24, v83, v87
	v_dual_dot2acc_f32_f16 v27, v82, v86 :: v_dual_dot2acc_f32_f16 v60, v80, v71
	v_dual_dot2acc_f32_f16 v15, v83, v84 :: v_dual_dot2acc_f32_f16 v52, v81, v69
	v_dual_dot2acc_f32_f16 v17, v83, v85 :: v_dual_dot2acc_f32_f16 v54, v81, v68
	v_dual_dot2acc_f32_f16 v23, v83, v86 :: v_dual_dot2acc_f32_f16 v58, v81, v71
	v_dual_dot2acc_f32_f16 v55, v80, v68 :: v_dual_dot2acc_f32_f16 v56, v81, v70
	v_dual_dot2acc_f32_f16 v57, v80, v69 :: v_dual_dot2acc_f32_f16 v34, v83, v68
	v_dual_dot2acc_f32_f16 v59, v80, v70 :: v_dual_dot2acc_f32_f16 v32, v83, v69
	v_dual_dot2acc_f32_f16 v43, v82, v68 :: v_dual_dot2acc_f32_f16 v36, v83, v70
	v_dual_dot2acc_f32_f16 v41, v82, v69 :: v_dual_dot2acc_f32_f16 v38, v83, v71
	s_waitcnt lgkmcnt(1)
	v_dual_dot2acc_f32_f16 v47, v82, v71 :: v_dual_dot2acc_f32_f16 v2, v72, v84
	v_dual_dot2acc_f32_f16 v1, v72, v85 :: v_dual_dot2acc_f32_f16 v6, v73, v84
	v_dual_dot2acc_f32_f16 v3, v72, v86 :: v_dual_dot2acc_f32_f16 v18, v74, v84
	v_dual_dot2acc_f32_f16 v4, v72, v87 :: v_dual_dot2acc_f32_f16 v7, v73, v85
	v_dual_dot2acc_f32_f16 v12, v73, v86 :: v_dual_dot2acc_f32_f16 v21, v74, v87
	v_dual_dot2acc_f32_f16 v13, v73, v87 :: v_dual_dot2acc_f32_f16 v14, v74, v85
	v_dual_dot2acc_f32_f16 v19, v74, v86 :: v_dual_dot2acc_f32_f16 v44, v75, v87
	v_dual_dot2acc_f32_f16 v39, v75, v84 :: v_dual_dot2acc_f32_f16 v10, v72, v70
	v_dual_dot2acc_f32_f16 v35, v75, v85 :: v_dual_dot2acc_f32_f16 v8, v72, v68
	v_dual_dot2acc_f32_f16 v42, v75, v86 :: v_dual_dot2acc_f32_f16 v9, v72, v69
	ds_load_b128 v[80:83], v67 offset:19456
	ds_load_b128 v[84:87], v67 offset:19712
	v_dual_dot2acc_f32_f16 v11, v72, v71 :: v_dual_dot2acc_f32_f16 v16, v73, v68
	v_dual_dot2acc_f32_f16 v0, v73, v69 :: v_dual_dot2acc_f32_f16 v37, v74, v68
	v_dual_dot2acc_f32_f16 v20, v73, v70 :: v_dual_dot2acc_f32_f16 v49, v74, v71
	v_dual_dot2acc_f32_f16 v22, v73, v71 :: v_dual_dot2acc_f32_f16 v45, v74, v70
	v_dual_dot2acc_f32_f16 v40, v74, v69 :: v_dual_dot2acc_f32_f16 v61, v75, v68
	v_dot2acc_f32_f16 v62, v75, v69
	v_dot2acc_f32_f16 v63, v75, v70
	v_dot2acc_f32_f16 v5, v75, v71
	ds_load_b128 v[68:71], v66 offset:3328
	ds_load_b128 v[72:75], v66 offset:3584
	s_waitcnt lgkmcnt(3)
	v_dot2acc_f32_f16 v50, v76, v80
	v_dot2acc_f32_f16 v48, v76, v81
	v_dot2acc_f32_f16 v51, v76, v82
	;; [unrolled: 42-line block ×3, first 2 shown]
	v_dual_dot2acc_f32_f16 v53, v72, v79 :: v_dual_dot2acc_f32_f16 v30, v73, v76
	v_dual_dot2acc_f32_f16 v29, v73, v77 :: v_dual_dot2acc_f32_f16 v28, v74, v79
	;; [unrolled: 1-line block ×3, first 2 shown]
	s_waitcnt lgkmcnt(2)
	v_dual_dot2acc_f32_f16 v33, v73, v79 :: v_dual_dot2acc_f32_f16 v46, v74, v82
	v_dual_dot2acc_f32_f16 v25, v74, v76 :: v_dual_dot2acc_f32_f16 v24, v75, v79
	;; [unrolled: 1-line block ×11, first 2 shown]
	v_dot2acc_f32_f16 v47, v74, v83
	ds_load_b128 v[72:75], v66 offset:4096
	s_waitcnt lgkmcnt(2)
	v_dot2acc_f32_f16 v2, v68, v76
	v_dual_dot2acc_f32_f16 v1, v68, v77 :: v_dual_dot2acc_f32_f16 v6, v69, v76
	v_dual_dot2acc_f32_f16 v3, v68, v78 :: v_dual_dot2acc_f32_f16 v18, v70, v76
	;; [unrolled: 1-line block ×14, first 2 shown]
	ds_load_b128 v[76:79], v67 offset:20736
	s_waitcnt lgkmcnt(1)
	v_dual_dot2acc_f32_f16 v62, v71, v81 :: v_dual_dot2acc_f32_f16 v51, v72, v86
	v_dual_dot2acc_f32_f16 v63, v71, v82 :: v_dual_dot2acc_f32_f16 v50, v72, v84
	;; [unrolled: 1-line block ×3, first 2 shown]
	ds_load_b128 v[68:71], v66 offset:4352
	v_dual_dot2acc_f32_f16 v53, v72, v87 :: v_dual_dot2acc_f32_f16 v30, v73, v84
	v_dual_dot2acc_f32_f16 v29, v73, v85 :: v_dual_dot2acc_f32_f16 v28, v74, v87
	;; [unrolled: 1-line block ×3, first 2 shown]
	v_dot2acc_f32_f16 v33, v73, v87
	v_dual_dot2acc_f32_f16 v25, v74, v84 :: v_dual_dot2acc_f32_f16 v24, v75, v87
	v_dot2acc_f32_f16 v27, v74, v86
	v_dot2acc_f32_f16 v15, v75, v84
	s_waitcnt lgkmcnt(1)
	v_dual_dot2acc_f32_f16 v17, v75, v85 :: v_dual_dot2acc_f32_f16 v54, v73, v76
	v_dual_dot2acc_f32_f16 v23, v75, v86 :: v_dual_dot2acc_f32_f16 v58, v73, v79
	;; [unrolled: 1-line block ×5, first 2 shown]
	v_dot2acc_f32_f16 v60, v72, v79
	v_dual_dot2acc_f32_f16 v52, v73, v77 :: v_dual_dot2acc_f32_f16 v43, v74, v76
	v_dual_dot2acc_f32_f16 v36, v75, v78 :: v_dual_dot2acc_f32_f16 v41, v74, v77
	v_dot2acc_f32_f16 v38, v75, v79
	v_dot2acc_f32_f16 v46, v74, v78
	;; [unrolled: 1-line block ×3, first 2 shown]
	ds_load_b128 v[72:75], v66 offset:4608
	s_waitcnt lgkmcnt(1)
	v_dot2acc_f32_f16 v2, v68, v84
	v_dual_dot2acc_f32_f16 v1, v68, v85 :: v_dual_dot2acc_f32_f16 v6, v69, v84
	v_dual_dot2acc_f32_f16 v3, v68, v86 :: v_dual_dot2acc_f32_f16 v18, v70, v84
	;; [unrolled: 1-line block ×9, first 2 shown]
	ds_load_b128 v[80:83], v67 offset:20992
	ds_load_b128 v[84:87], v67 offset:21248
	v_dual_dot2acc_f32_f16 v11, v68, v79 :: v_dual_dot2acc_f32_f16 v16, v69, v76
	v_dual_dot2acc_f32_f16 v0, v69, v77 :: v_dual_dot2acc_f32_f16 v37, v70, v76
	;; [unrolled: 1-line block ×5, first 2 shown]
	v_dot2acc_f32_f16 v62, v71, v77
	v_dot2acc_f32_f16 v63, v71, v78
	;; [unrolled: 1-line block ×3, first 2 shown]
	ds_load_b128 v[68:71], v66 offset:4864
	ds_load_b128 v[76:79], v67 offset:21504
	s_waitcnt lgkmcnt(3)
	v_dot2acc_f32_f16 v50, v72, v80
	v_dot2acc_f32_f16 v48, v72, v81
	;; [unrolled: 1-line block ×3, first 2 shown]
	v_dual_dot2acc_f32_f16 v53, v72, v83 :: v_dual_dot2acc_f32_f16 v30, v73, v80
	v_dual_dot2acc_f32_f16 v29, v73, v81 :: v_dual_dot2acc_f32_f16 v28, v74, v83
	;; [unrolled: 1-line block ×3, first 2 shown]
	s_waitcnt lgkmcnt(2)
	v_dual_dot2acc_f32_f16 v33, v73, v83 :: v_dual_dot2acc_f32_f16 v46, v74, v86
	v_dual_dot2acc_f32_f16 v25, v74, v80 :: v_dual_dot2acc_f32_f16 v24, v75, v83
	;; [unrolled: 1-line block ×11, first 2 shown]
	v_dot2acc_f32_f16 v47, v74, v87
	ds_load_b128 v[72:75], v66 offset:5120
	s_waitcnt lgkmcnt(2)
	v_dot2acc_f32_f16 v2, v68, v80
	v_dual_dot2acc_f32_f16 v1, v68, v81 :: v_dual_dot2acc_f32_f16 v6, v69, v80
	v_dual_dot2acc_f32_f16 v3, v68, v82 :: v_dual_dot2acc_f32_f16 v18, v70, v80
	;; [unrolled: 1-line block ×14, first 2 shown]
	ds_load_b128 v[80:83], v67 offset:21760
	s_waitcnt lgkmcnt(1)
	v_dual_dot2acc_f32_f16 v62, v71, v85 :: v_dual_dot2acc_f32_f16 v51, v72, v78
	v_dual_dot2acc_f32_f16 v63, v71, v86 :: v_dual_dot2acc_f32_f16 v50, v72, v76
	;; [unrolled: 1-line block ×3, first 2 shown]
	ds_load_b128 v[68:71], v66 offset:5376
	v_dual_dot2acc_f32_f16 v53, v72, v79 :: v_dual_dot2acc_f32_f16 v30, v73, v76
	v_dual_dot2acc_f32_f16 v29, v73, v77 :: v_dual_dot2acc_f32_f16 v28, v74, v79
	;; [unrolled: 1-line block ×3, first 2 shown]
	v_dot2acc_f32_f16 v33, v73, v79
	v_dual_dot2acc_f32_f16 v25, v74, v76 :: v_dual_dot2acc_f32_f16 v24, v75, v79
	v_dot2acc_f32_f16 v27, v74, v78
	v_dot2acc_f32_f16 v15, v75, v76
	s_waitcnt lgkmcnt(1)
	v_dual_dot2acc_f32_f16 v17, v75, v77 :: v_dual_dot2acc_f32_f16 v54, v73, v80
	v_dual_dot2acc_f32_f16 v23, v75, v78 :: v_dual_dot2acc_f32_f16 v58, v73, v83
	;; [unrolled: 1-line block ×5, first 2 shown]
	v_dot2acc_f32_f16 v60, v72, v83
	v_dual_dot2acc_f32_f16 v52, v73, v81 :: v_dual_dot2acc_f32_f16 v43, v74, v80
	v_dual_dot2acc_f32_f16 v36, v75, v82 :: v_dual_dot2acc_f32_f16 v41, v74, v81
	v_dot2acc_f32_f16 v38, v75, v83
	v_dot2acc_f32_f16 v46, v74, v82
	;; [unrolled: 1-line block ×3, first 2 shown]
	ds_load_b128 v[72:75], v66 offset:5632
	s_waitcnt lgkmcnt(1)
	v_dot2acc_f32_f16 v2, v68, v76
	v_dual_dot2acc_f32_f16 v1, v68, v77 :: v_dual_dot2acc_f32_f16 v6, v69, v76
	v_dual_dot2acc_f32_f16 v3, v68, v78 :: v_dual_dot2acc_f32_f16 v18, v70, v76
	v_dual_dot2acc_f32_f16 v4, v68, v79 :: v_dual_dot2acc_f32_f16 v7, v69, v77
	v_dual_dot2acc_f32_f16 v12, v69, v78 :: v_dual_dot2acc_f32_f16 v21, v70, v79
	v_dual_dot2acc_f32_f16 v13, v69, v79 :: v_dual_dot2acc_f32_f16 v14, v70, v77
	v_dual_dot2acc_f32_f16 v19, v70, v78 :: v_dual_dot2acc_f32_f16 v44, v71, v79
	v_dual_dot2acc_f32_f16 v39, v71, v76 :: v_dual_dot2acc_f32_f16 v10, v68, v82
	v_dual_dot2acc_f32_f16 v35, v71, v77 :: v_dual_dot2acc_f32_f16 v8, v68, v80
	v_dual_dot2acc_f32_f16 v42, v71, v78 :: v_dual_dot2acc_f32_f16 v9, v68, v81
	ds_load_b128 v[84:87], v67 offset:22016
	ds_load_b128 v[76:79], v67 offset:22272
	v_dual_dot2acc_f32_f16 v11, v68, v83 :: v_dual_dot2acc_f32_f16 v16, v69, v80
	v_dual_dot2acc_f32_f16 v0, v69, v81 :: v_dual_dot2acc_f32_f16 v37, v70, v80
	;; [unrolled: 1-line block ×5, first 2 shown]
	v_dot2acc_f32_f16 v62, v71, v81
	v_dot2acc_f32_f16 v63, v71, v82
	;; [unrolled: 1-line block ×3, first 2 shown]
	ds_load_b128 v[68:71], v66 offset:5888
	ds_load_b128 v[80:83], v67 offset:22528
	s_waitcnt lgkmcnt(3)
	v_dot2acc_f32_f16 v50, v72, v84
	v_dot2acc_f32_f16 v48, v72, v85
	v_dot2acc_f32_f16 v51, v72, v86
	v_dual_dot2acc_f32_f16 v53, v72, v87 :: v_dual_dot2acc_f32_f16 v30, v73, v84
	v_dual_dot2acc_f32_f16 v29, v73, v85 :: v_dual_dot2acc_f32_f16 v28, v74, v87
	v_dual_dot2acc_f32_f16 v31, v73, v86 :: v_dual_dot2acc_f32_f16 v26, v74, v85
	s_waitcnt lgkmcnt(2)
	v_dual_dot2acc_f32_f16 v33, v73, v87 :: v_dual_dot2acc_f32_f16 v46, v74, v78
	v_dual_dot2acc_f32_f16 v25, v74, v84 :: v_dual_dot2acc_f32_f16 v24, v75, v87
	v_dual_dot2acc_f32_f16 v27, v74, v86 :: v_dual_dot2acc_f32_f16 v60, v72, v79
	v_dual_dot2acc_f32_f16 v15, v75, v84 :: v_dual_dot2acc_f32_f16 v52, v73, v77
	v_dual_dot2acc_f32_f16 v17, v75, v85 :: v_dual_dot2acc_f32_f16 v54, v73, v76
	v_dual_dot2acc_f32_f16 v23, v75, v86 :: v_dual_dot2acc_f32_f16 v58, v73, v79
	v_dual_dot2acc_f32_f16 v55, v72, v76 :: v_dual_dot2acc_f32_f16 v56, v73, v78
	v_dual_dot2acc_f32_f16 v57, v72, v77 :: v_dual_dot2acc_f32_f16 v34, v75, v76
	v_dual_dot2acc_f32_f16 v59, v72, v78 :: v_dual_dot2acc_f32_f16 v32, v75, v77
	v_dual_dot2acc_f32_f16 v43, v74, v76 :: v_dual_dot2acc_f32_f16 v36, v75, v78
	v_dual_dot2acc_f32_f16 v41, v74, v77 :: v_dual_dot2acc_f32_f16 v38, v75, v79
	v_dot2acc_f32_f16 v47, v74, v79
	ds_load_b128 v[72:75], v66 offset:6144
	s_waitcnt lgkmcnt(2)
	v_dot2acc_f32_f16 v2, v68, v84
	v_dual_dot2acc_f32_f16 v1, v68, v85 :: v_dual_dot2acc_f32_f16 v6, v69, v84
	v_dual_dot2acc_f32_f16 v3, v68, v86 :: v_dual_dot2acc_f32_f16 v18, v70, v84
	;; [unrolled: 1-line block ×14, first 2 shown]
	ds_load_b128 v[84:87], v67 offset:22784
	s_waitcnt lgkmcnt(1)
	v_dual_dot2acc_f32_f16 v62, v71, v77 :: v_dual_dot2acc_f32_f16 v51, v72, v82
	v_dual_dot2acc_f32_f16 v63, v71, v78 :: v_dual_dot2acc_f32_f16 v50, v72, v80
	;; [unrolled: 1-line block ×3, first 2 shown]
	ds_load_b128 v[68:71], v66 offset:6400
	v_dual_dot2acc_f32_f16 v53, v72, v83 :: v_dual_dot2acc_f32_f16 v30, v73, v80
	v_dual_dot2acc_f32_f16 v29, v73, v81 :: v_dual_dot2acc_f32_f16 v28, v74, v83
	;; [unrolled: 1-line block ×3, first 2 shown]
	v_dot2acc_f32_f16 v33, v73, v83
	v_dual_dot2acc_f32_f16 v25, v74, v80 :: v_dual_dot2acc_f32_f16 v24, v75, v83
	v_dot2acc_f32_f16 v27, v74, v82
	v_dot2acc_f32_f16 v15, v75, v80
	s_waitcnt lgkmcnt(1)
	v_dual_dot2acc_f32_f16 v17, v75, v81 :: v_dual_dot2acc_f32_f16 v54, v73, v84
	v_dual_dot2acc_f32_f16 v23, v75, v82 :: v_dual_dot2acc_f32_f16 v58, v73, v87
	;; [unrolled: 1-line block ×5, first 2 shown]
	v_dot2acc_f32_f16 v60, v72, v87
	v_dual_dot2acc_f32_f16 v52, v73, v85 :: v_dual_dot2acc_f32_f16 v43, v74, v84
	v_dual_dot2acc_f32_f16 v36, v75, v86 :: v_dual_dot2acc_f32_f16 v41, v74, v85
	v_dot2acc_f32_f16 v38, v75, v87
	v_dot2acc_f32_f16 v46, v74, v86
	;; [unrolled: 1-line block ×3, first 2 shown]
	ds_load_b128 v[72:75], v66 offset:6656
	s_waitcnt lgkmcnt(1)
	v_dot2acc_f32_f16 v2, v68, v80
	v_dual_dot2acc_f32_f16 v1, v68, v81 :: v_dual_dot2acc_f32_f16 v6, v69, v80
	v_dual_dot2acc_f32_f16 v3, v68, v82 :: v_dual_dot2acc_f32_f16 v18, v70, v80
	;; [unrolled: 1-line block ×9, first 2 shown]
	ds_load_b128 v[76:79], v67 offset:23040
	ds_load_b128 v[80:83], v67 offset:23296
	v_dual_dot2acc_f32_f16 v11, v68, v87 :: v_dual_dot2acc_f32_f16 v16, v69, v84
	v_dual_dot2acc_f32_f16 v0, v69, v85 :: v_dual_dot2acc_f32_f16 v37, v70, v84
	v_dual_dot2acc_f32_f16 v20, v69, v86 :: v_dual_dot2acc_f32_f16 v49, v70, v87
	v_dual_dot2acc_f32_f16 v22, v69, v87 :: v_dual_dot2acc_f32_f16 v45, v70, v86
	v_dual_dot2acc_f32_f16 v40, v70, v85 :: v_dual_dot2acc_f32_f16 v61, v71, v84
	v_dot2acc_f32_f16 v62, v71, v85
	v_dot2acc_f32_f16 v63, v71, v86
	;; [unrolled: 1-line block ×3, first 2 shown]
	ds_load_b128 v[68:71], v66 offset:6912
	ds_load_b128 v[84:87], v67 offset:23552
	s_waitcnt lgkmcnt(3)
	v_dot2acc_f32_f16 v50, v72, v76
	v_dot2acc_f32_f16 v48, v72, v77
	;; [unrolled: 1-line block ×3, first 2 shown]
	v_dual_dot2acc_f32_f16 v53, v72, v79 :: v_dual_dot2acc_f32_f16 v30, v73, v76
	v_dual_dot2acc_f32_f16 v29, v73, v77 :: v_dual_dot2acc_f32_f16 v28, v74, v79
	;; [unrolled: 1-line block ×3, first 2 shown]
	s_waitcnt lgkmcnt(2)
	v_dual_dot2acc_f32_f16 v33, v73, v79 :: v_dual_dot2acc_f32_f16 v46, v74, v82
	v_dual_dot2acc_f32_f16 v25, v74, v76 :: v_dual_dot2acc_f32_f16 v24, v75, v79
	;; [unrolled: 1-line block ×11, first 2 shown]
	v_dot2acc_f32_f16 v47, v74, v83
	ds_load_b128 v[72:75], v66 offset:7168
	s_waitcnt lgkmcnt(2)
	v_dot2acc_f32_f16 v2, v68, v76
	v_dual_dot2acc_f32_f16 v1, v68, v77 :: v_dual_dot2acc_f32_f16 v6, v69, v76
	v_dual_dot2acc_f32_f16 v3, v68, v78 :: v_dual_dot2acc_f32_f16 v18, v70, v76
	;; [unrolled: 1-line block ×14, first 2 shown]
	ds_load_b128 v[76:79], v67 offset:23808
	s_waitcnt lgkmcnt(1)
	v_dual_dot2acc_f32_f16 v62, v71, v81 :: v_dual_dot2acc_f32_f16 v51, v72, v86
	v_dual_dot2acc_f32_f16 v63, v71, v82 :: v_dual_dot2acc_f32_f16 v50, v72, v84
	;; [unrolled: 1-line block ×3, first 2 shown]
	ds_load_b128 v[68:71], v66 offset:7424
	v_dual_dot2acc_f32_f16 v53, v72, v87 :: v_dual_dot2acc_f32_f16 v30, v73, v84
	v_dual_dot2acc_f32_f16 v29, v73, v85 :: v_dual_dot2acc_f32_f16 v28, v74, v87
	;; [unrolled: 1-line block ×3, first 2 shown]
	v_dot2acc_f32_f16 v33, v73, v87
	v_dual_dot2acc_f32_f16 v25, v74, v84 :: v_dual_dot2acc_f32_f16 v24, v75, v87
	v_dot2acc_f32_f16 v27, v74, v86
	v_dot2acc_f32_f16 v15, v75, v84
	s_waitcnt lgkmcnt(1)
	v_dual_dot2acc_f32_f16 v17, v75, v85 :: v_dual_dot2acc_f32_f16 v54, v73, v76
	v_dual_dot2acc_f32_f16 v23, v75, v86 :: v_dual_dot2acc_f32_f16 v58, v73, v79
	;; [unrolled: 1-line block ×5, first 2 shown]
	v_dot2acc_f32_f16 v60, v72, v79
	v_dual_dot2acc_f32_f16 v52, v73, v77 :: v_dual_dot2acc_f32_f16 v43, v74, v76
	v_dual_dot2acc_f32_f16 v36, v75, v78 :: v_dual_dot2acc_f32_f16 v41, v74, v77
	v_dot2acc_f32_f16 v38, v75, v79
	v_dot2acc_f32_f16 v46, v74, v78
	;; [unrolled: 1-line block ×3, first 2 shown]
	ds_load_b128 v[72:75], v66 offset:7680
	s_waitcnt lgkmcnt(1)
	v_dot2acc_f32_f16 v2, v68, v84
	v_dual_dot2acc_f32_f16 v1, v68, v85 :: v_dual_dot2acc_f32_f16 v6, v69, v84
	v_dual_dot2acc_f32_f16 v3, v68, v86 :: v_dual_dot2acc_f32_f16 v18, v70, v84
	;; [unrolled: 1-line block ×9, first 2 shown]
	ds_load_b128 v[80:83], v67 offset:24064
	v_dual_dot2acc_f32_f16 v11, v68, v79 :: v_dual_dot2acc_f32_f16 v16, v69, v76
	v_dual_dot2acc_f32_f16 v0, v69, v77 :: v_dual_dot2acc_f32_f16 v37, v70, v76
	v_dual_dot2acc_f32_f16 v20, v69, v78 :: v_dual_dot2acc_f32_f16 v49, v70, v79
	v_dual_dot2acc_f32_f16 v22, v69, v79 :: v_dual_dot2acc_f32_f16 v45, v70, v78
	v_dual_dot2acc_f32_f16 v40, v70, v77 :: v_dual_dot2acc_f32_f16 v61, v71, v76
	v_dot2acc_f32_f16 v62, v71, v77
	v_dot2acc_f32_f16 v63, v71, v78
	;; [unrolled: 1-line block ×3, first 2 shown]
	ds_load_b128 v[76:79], v66 offset:7936
	ds_load_b128 v[67:70], v67 offset:24320
	s_waitcnt lgkmcnt(2)
	v_dual_dot2acc_f32_f16 v50, v72, v80 :: v_dual_add_nc_u32 v65, s8, v65
	v_dot2acc_f32_f16 v48, v72, v81
	v_dot2acc_f32_f16 v51, v72, v82
	v_dual_dot2acc_f32_f16 v53, v72, v83 :: v_dual_dot2acc_f32_f16 v30, v73, v80
	s_delay_alu instid0(VALU_DEP_4) | instskip(NEXT) | instid1(VALU_DEP_4)
	v_cvt_f16_f32_e32 v50, v50
	v_cvt_f16_f32_e32 v48, v48
	s_delay_alu instid0(VALU_DEP_4) | instskip(NEXT) | instid1(VALU_DEP_4)
	v_cvt_f16_f32_e32 v51, v51
	v_cvt_f16_f32_e32 v53, v53
	v_dot2acc_f32_f16 v27, v74, v82
	v_dot2acc_f32_f16 v17, v75, v81
	;; [unrolled: 1-line block ×3, first 2 shown]
	v_pack_b32_f16 v50, v50, v48
	v_pack_b32_f16 v51, v51, v53
	v_dual_dot2acc_f32_f16 v31, v73, v82 :: v_dual_dot2acc_f32_f16 v26, v74, v81
	s_waitcnt lgkmcnt(0)
	v_dot2acc_f32_f16 v22, v77, v70
	v_mul_lo_u32 v65, v65, s12
	v_dot2acc_f32_f16 v54, v73, v67
	v_dual_dot2acc_f32_f16 v52, v73, v68 :: v_dual_dot2acc_f32_f16 v55, v72, v67
	v_dual_dot2acc_f32_f16 v58, v73, v70 :: v_dual_dot2acc_f32_f16 v57, v72, v68
	;; [unrolled: 1-line block ×3, first 2 shown]
	v_dot2acc_f32_f16 v32, v75, v68
	v_add3_u32 v64, s7, v64, v65
	v_dual_dot2acc_f32_f16 v60, v72, v70 :: v_dual_dot2acc_f32_f16 v15, v75, v80
	v_dot2acc_f32_f16 v56, v73, v69
	v_cvt_f16_f32_e32 v54, v54
	s_delay_alu instid0(VALU_DEP_4)
	v_dual_dot2acc_f32_f16 v63, v79, v69 :: v_dual_lshlrev_b32 v48, 1, v64
	v_cvt_f16_f32_e32 v52, v52
	s_mov_b32 s7, s3
	v_dot2acc_f32_f16 v5, v79, v70
	buffer_store_b64 v[50:51], v48, s[4:7], 0 offen
	v_add_nc_u32_e32 v48, 64, v64
	v_cvt_f16_f32_e32 v50, v55
	v_cvt_f16_f32_e32 v53, v57
	;; [unrolled: 1-line block ×4, first 2 shown]
	v_dual_dot2acc_f32_f16 v29, v73, v81 :: v_dual_dot2acc_f32_f16 v28, v74, v83
	v_cvt_f16_f32_e32 v56, v56
	v_cvt_f16_f32_e32 v57, v58
	v_pack_b32_f16 v52, v54, v52
	v_cvt_f16_f32_e32 v54, v30
	v_cvt_f16_f32_e32 v30, v31
	;; [unrolled: 1-line block ×3, first 2 shown]
	v_add_nc_u32_e32 v33, s12, v64
	v_dual_dot2acc_f32_f16 v25, v74, v80 :: v_dual_dot2acc_f32_f16 v24, v75, v83
	v_pack_b32_f16 v51, v51, v55
	v_pack_b32_f16 v50, v50, v53
	v_lshlrev_b32_e32 v55, 1, v48
	v_dual_dot2acc_f32_f16 v23, v75, v82 :: v_dual_dot2acc_f32_f16 v46, v74, v69
	v_dual_dot2acc_f32_f16 v43, v74, v67 :: v_dual_dot2acc_f32_f16 v36, v75, v69
	;; [unrolled: 1-line block ×4, first 2 shown]
	v_pack_b32_f16 v53, v56, v57
	v_add_lshl_u32 v48, v48, s12, 1
	v_pack_b32_f16 v30, v30, v31
	v_cvt_f16_f32_e32 v27, v27
	v_cvt_f16_f32_e32 v28, v28
	v_lshlrev_b32_e32 v31, 1, v33
	v_add_nc_u32_e32 v33, s12, v33
	v_cvt_f16_f32_e32 v29, v29
	s_clause 0x1
	buffer_store_b64 v[50:51], v55, s[4:7], 0 offen
	buffer_store_b64 v[52:53], v48, s[4:7], 0 offen
	v_cvt_f16_f32_e32 v25, v25
	v_cvt_f16_f32_e32 v48, v26
	v_pack_b32_f16 v26, v27, v28
	v_cvt_f16_f32_e32 v27, v43
	v_cvt_f16_f32_e32 v28, v46
	;; [unrolled: 1-line block ×4, first 2 shown]
	v_add_nc_u32_e32 v46, 64, v33
	v_pack_b32_f16 v29, v54, v29
	v_pack_b32_f16 v25, v25, v48
	v_lshlrev_b32_e32 v47, 1, v33
	v_pack_b32_f16 v28, v28, v43
	v_pack_b32_f16 v27, v27, v41
	v_lshlrev_b32_e32 v41, 1, v46
	v_dual_dot2acc_f32_f16 v19, v78, v82 :: v_dual_dot2acc_f32_f16 v44, v79, v83
	v_dual_dot2acc_f32_f16 v39, v79, v80 :: v_dual_dot2acc_f32_f16 v8, v76, v67
	;; [unrolled: 1-line block ×4, first 2 shown]
	v_cvt_f16_f32_e32 v34, v34
	v_cvt_f16_f32_e32 v32, v32
	s_clause 0x2
	buffer_store_b64 v[29:30], v31, s[4:7], 0 offen
	buffer_store_b64 v[25:26], v47, s[4:7], 0 offen
	;; [unrolled: 1-line block ×3, first 2 shown]
	v_add_nc_u32_e32 v27, s12, v33
	v_cvt_f16_f32_e32 v36, v36
	v_cvt_f16_f32_e32 v38, v38
	v_pack_b32_f16 v25, v34, v32
	v_cvt_f16_f32_e32 v23, v23
	v_cvt_f16_f32_e32 v24, v24
	;; [unrolled: 1-line block ×8, first 2 shown]
	v_lshl_add_u32 v33, s12, 6, v27
	v_pack_b32_f16 v26, v36, v38
	v_add_lshl_u32 v29, v46, s12, 1
	v_pack_b32_f16 v24, v23, v24
	v_pack_b32_f16 v23, v15, v17
	v_lshlrev_b32_e32 v15, 1, v27
	v_pack_b32_f16 v28, v28, v31
	v_pack_b32_f16 v27, v30, v32
	v_dual_dot2acc_f32_f16 v40, v78, v68 :: v_dual_lshlrev_b32 v17, 1, v33
	v_dot2acc_f32_f16 v61, v79, v67
	v_dual_dot2acc_f32_f16 v45, v78, v69 :: v_dual_dot2acc_f32_f16 v62, v79, v68
	v_dual_dot2acc_f32_f16 v10, v76, v69 :: v_dual_dot2acc_f32_f16 v37, v78, v67
	;; [unrolled: 1-line block ×3, first 2 shown]
	s_clause 0x1
	buffer_store_b64 v[25:26], v29, s[4:7], 0 offen
	buffer_store_b64 v[23:24], v15, s[4:7], 0 offen
	v_cvt_f16_f32_e32 v15, v63
	v_cvt_f16_f32_e32 v5, v5
	buffer_store_b64 v[27:28], v17, s[4:7], 0 offen
	v_add_nc_u32_e32 v17, 64, v33
	v_cvt_f16_f32_e32 v23, v61
	v_cvt_f16_f32_e32 v25, v62
	v_pack_b32_f16 v24, v15, v5
	v_cvt_f16_f32_e32 v5, v37
	v_cvt_f16_f32_e32 v15, v45
	;; [unrolled: 1-line block ×4, first 2 shown]
	v_subrev_nc_u32_e32 v28, s12, v17
	v_dual_dot2acc_f32_f16 v3, v76, v82 :: v_dual_dot2acc_f32_f16 v18, v78, v80
	v_dual_dot2acc_f32_f16 v13, v77, v83 :: v_dual_dot2acc_f32_f16 v14, v78, v81
	v_pack_b32_f16 v23, v23, v25
	v_lshlrev_b32_e32 v17, 1, v17
	v_pack_b32_f16 v26, v15, v26
	v_pack_b32_f16 v25, v5, v27
	v_dual_dot2acc_f32_f16 v12, v77, v82 :: v_dual_lshlrev_b32 v5, 1, v28
	v_dot2acc_f32_f16 v21, v78, v83
	v_cvt_f16_f32_e32 v18, v18
	v_cvt_f16_f32_e32 v14, v14
	s_clause 0x1
	buffer_store_b64 v[23:24], v17, s[4:7], 0 offen
	buffer_store_b64 v[25:26], v5, s[4:7], 0 offen
	v_subrev_nc_u32_e32 v5, 64, v28
	v_dual_dot2acc_f32_f16 v1, v76, v81 :: v_dual_dot2acc_f32_f16 v6, v77, v80
	v_dual_dot2acc_f32_f16 v11, v76, v70 :: v_dual_dot2acc_f32_f16 v0, v77, v68
	v_cvt_f16_f32_e32 v15, v19
	v_cvt_f16_f32_e32 v19, v21
	v_pack_b32_f16 v14, v18, v14
	v_cvt_f16_f32_e32 v12, v12
	v_cvt_f16_f32_e32 v13, v13
	v_subrev_nc_u32_e32 v18, s12, v5
	v_dual_dot2acc_f32_f16 v4, v76, v83 :: v_dual_dot2acc_f32_f16 v7, v77, v81
	v_pack_b32_f16 v15, v15, v19
	v_lshlrev_b32_e32 v17, 1, v5
	v_cvt_f16_f32_e32 v5, v6
	v_pack_b32_f16 v6, v12, v13
	v_cvt_f16_f32_e32 v12, v16
	v_cvt_f16_f32_e32 v0, v0
	v_add_nc_u32_e32 v19, 64, v18
	v_cvt_f16_f32_e32 v7, v7
	v_cvt_f16_f32_e32 v13, v20
	;; [unrolled: 1-line block ×3, first 2 shown]
	v_pack_b32_f16 v12, v12, v0
	v_subrev_nc_u32_e32 v0, s12, v19
	v_cvt_f16_f32_e32 v8, v8
	v_cvt_f16_f32_e32 v9, v9
	;; [unrolled: 1-line block ×4, first 2 shown]
	v_pack_b32_f16 v5, v5, v7
	v_lshlrev_b32_e32 v7, 1, v18
	v_pack_b32_f16 v13, v13, v16
	v_lshlrev_b32_e32 v16, 1, v19
	v_cvt_f16_f32_e32 v2, v2
	v_cvt_f16_f32_e32 v3, v3
	;; [unrolled: 1-line block ×4, first 2 shown]
	v_lshlrev_b32_e32 v19, 1, v0
	v_pack_b32_f16 v1, v10, v11
	v_pack_b32_f16 v0, v8, v9
	;; [unrolled: 1-line block ×4, first 2 shown]
	v_add_nc_u32_e32 v4, 0xffffff80, v19
	s_clause 0x4
	buffer_store_b64 v[14:15], v17, s[4:7], 0 offen
	buffer_store_b64 v[5:6], v7, s[4:7], 0 offen
	;; [unrolled: 1-line block ×5, first 2 shown]
	s_nop 0
	s_sendmsg sendmsg(MSG_DEALLOC_VGPRS)
	s_endpgm
	.section	.rodata,"a",@progbits
	.p2align	6, 0x0
	.amdhsa_kernel _ZN2ck19kernel_gemm_dl_v1r3INS_28GridwiseGemmDl_km_kn_mn_v1r3ILi256EDF16_fDF16_LNS_25InMemoryDataOperationEnumE0ENS_16TensorDescriptorINS_5TupleIJNS_5EmbedINS4_IJiiEEENS4_IJNS_17integral_constantIiLi1EEEiEEELb0EEENS_7UnMergeINS4_IJiNS7_IiLi2EEEEEELb0EEENS_11PassThroughIiEEEEENS4_IJNS_8SequenceIJLi0EEEENSI_IJLi2EEEENSI_IJLi1EEEEEEENS4_IJNSI_IJLi1ELi2EEEENSI_IJLi3ELi4EEEENSI_IJLi5EEEEEEENSI_IJLi3ELi5ELi4EEEElEENS3_INS4_IJNS5_IS6_NS4_IJiS8_EEELb0EEESE_SG_EEENS4_IJSJ_SL_SK_EEESQ_SR_lEENS3_INS4_IJSU_SG_SG_EEESW_NS4_IJSN_NSI_IJLi3EEEENSI_IJLi4EEEEEEESO_lEELi128ELi128ELi16ELi2ELi4ELi4ELi1ENSI_IJLi8ELi2EEEES13_NSI_IJLi2ELi1ELi4ELi2EEEENSI_IJLi8ELi1ELi32ELi1EEEENSI_IJLi0ELi3ELi1ELi2EEEES16_NSI_IJLi1ELi1ELi4ELi1EEEES16_NSI_IJLi1ELi1ELi4ELi2EEEES14_S15_S16_S16_S17_S16_S18_NSI_IJLi0ELi1ELi2ELi3ELi4ELi5EEEELi5ELi4EEEDF16_DF16_NS3_INS4_IJSA_SE_SG_SG_NSB_INS4_IJiNS7_IiLi128EEEEEELb0EEENSF_ISC_EEEEENS4_IJSJ_SK_SL_SZ_SP_S10_EEENS4_IJSN_SO_SP_NSI_IJLi6EEEENSI_IJLi7ELi8EEEENSI_IJLi9EEEEEEENSI_IJLi6ELi7ELi8ELi9EEEElEENS3_INS4_IJSU_SE_SG_SG_S1D_S1E_EEENS4_IJSJ_SL_SK_SZ_SP_S10_EEES1K_S1L_lEENS3_INS4_IJSU_SG_SG_NSB_INS4_IJiSC_NS7_IiLi64EEEEEELb0EEES1S_EEENS4_IJSJ_SL_SK_SZ_S10_EEENS4_IJSN_SZ_S10_NSI_IJLi5ELi6ELi7EEEENSI_IJLi8ELi9ELi10EEEEEEENSI_IJLi5ELi6ELi7ELi8ELi9ELi10EEEElEENS_31BlockToCTileMap_M00_N00_M01_N01ILi128ELi128ES12_Lb0EEELb0ELb0EEEvPKT0_S24_PT1_T2_T3_T4_T5_
		.amdhsa_group_segment_fixed_size 32768
		.amdhsa_private_segment_fixed_size 0
		.amdhsa_kernarg_size 328
		.amdhsa_user_sgpr_count 15
		.amdhsa_user_sgpr_dispatch_ptr 0
		.amdhsa_user_sgpr_queue_ptr 0
		.amdhsa_user_sgpr_kernarg_segment_ptr 1
		.amdhsa_user_sgpr_dispatch_id 0
		.amdhsa_user_sgpr_private_segment_size 0
		.amdhsa_wavefront_size32 1
		.amdhsa_uses_dynamic_stack 0
		.amdhsa_enable_private_segment 0
		.amdhsa_system_sgpr_workgroup_id_x 1
		.amdhsa_system_sgpr_workgroup_id_y 0
		.amdhsa_system_sgpr_workgroup_id_z 0
		.amdhsa_system_sgpr_workgroup_info 0
		.amdhsa_system_vgpr_workitem_id 0
		.amdhsa_next_free_vgpr 136
		.amdhsa_next_free_sgpr 28
		.amdhsa_reserve_vcc 0
		.amdhsa_float_round_mode_32 0
		.amdhsa_float_round_mode_16_64 0
		.amdhsa_float_denorm_mode_32 3
		.amdhsa_float_denorm_mode_16_64 3
		.amdhsa_dx10_clamp 1
		.amdhsa_ieee_mode 1
		.amdhsa_fp16_overflow 0
		.amdhsa_workgroup_processor_mode 1
		.amdhsa_memory_ordered 1
		.amdhsa_forward_progress 0
		.amdhsa_shared_vgpr_count 0
		.amdhsa_exception_fp_ieee_invalid_op 0
		.amdhsa_exception_fp_denorm_src 0
		.amdhsa_exception_fp_ieee_div_zero 0
		.amdhsa_exception_fp_ieee_overflow 0
		.amdhsa_exception_fp_ieee_underflow 0
		.amdhsa_exception_fp_ieee_inexact 0
		.amdhsa_exception_int_div_zero 0
	.end_amdhsa_kernel
	.section	.text._ZN2ck19kernel_gemm_dl_v1r3INS_28GridwiseGemmDl_km_kn_mn_v1r3ILi256EDF16_fDF16_LNS_25InMemoryDataOperationEnumE0ENS_16TensorDescriptorINS_5TupleIJNS_5EmbedINS4_IJiiEEENS4_IJNS_17integral_constantIiLi1EEEiEEELb0EEENS_7UnMergeINS4_IJiNS7_IiLi2EEEEEELb0EEENS_11PassThroughIiEEEEENS4_IJNS_8SequenceIJLi0EEEENSI_IJLi2EEEENSI_IJLi1EEEEEEENS4_IJNSI_IJLi1ELi2EEEENSI_IJLi3ELi4EEEENSI_IJLi5EEEEEEENSI_IJLi3ELi5ELi4EEEElEENS3_INS4_IJNS5_IS6_NS4_IJiS8_EEELb0EEESE_SG_EEENS4_IJSJ_SL_SK_EEESQ_SR_lEENS3_INS4_IJSU_SG_SG_EEESW_NS4_IJSN_NSI_IJLi3EEEENSI_IJLi4EEEEEEESO_lEELi128ELi128ELi16ELi2ELi4ELi4ELi1ENSI_IJLi8ELi2EEEES13_NSI_IJLi2ELi1ELi4ELi2EEEENSI_IJLi8ELi1ELi32ELi1EEEENSI_IJLi0ELi3ELi1ELi2EEEES16_NSI_IJLi1ELi1ELi4ELi1EEEES16_NSI_IJLi1ELi1ELi4ELi2EEEES14_S15_S16_S16_S17_S16_S18_NSI_IJLi0ELi1ELi2ELi3ELi4ELi5EEEELi5ELi4EEEDF16_DF16_NS3_INS4_IJSA_SE_SG_SG_NSB_INS4_IJiNS7_IiLi128EEEEEELb0EEENSF_ISC_EEEEENS4_IJSJ_SK_SL_SZ_SP_S10_EEENS4_IJSN_SO_SP_NSI_IJLi6EEEENSI_IJLi7ELi8EEEENSI_IJLi9EEEEEEENSI_IJLi6ELi7ELi8ELi9EEEElEENS3_INS4_IJSU_SE_SG_SG_S1D_S1E_EEENS4_IJSJ_SL_SK_SZ_SP_S10_EEES1K_S1L_lEENS3_INS4_IJSU_SG_SG_NSB_INS4_IJiSC_NS7_IiLi64EEEEEELb0EEES1S_EEENS4_IJSJ_SL_SK_SZ_S10_EEENS4_IJSN_SZ_S10_NSI_IJLi5ELi6ELi7EEEENSI_IJLi8ELi9ELi10EEEEEEENSI_IJLi5ELi6ELi7ELi8ELi9ELi10EEEElEENS_31BlockToCTileMap_M00_N00_M01_N01ILi128ELi128ES12_Lb0EEELb0ELb0EEEvPKT0_S24_PT1_T2_T3_T4_T5_,"axG",@progbits,_ZN2ck19kernel_gemm_dl_v1r3INS_28GridwiseGemmDl_km_kn_mn_v1r3ILi256EDF16_fDF16_LNS_25InMemoryDataOperationEnumE0ENS_16TensorDescriptorINS_5TupleIJNS_5EmbedINS4_IJiiEEENS4_IJNS_17integral_constantIiLi1EEEiEEELb0EEENS_7UnMergeINS4_IJiNS7_IiLi2EEEEEELb0EEENS_11PassThroughIiEEEEENS4_IJNS_8SequenceIJLi0EEEENSI_IJLi2EEEENSI_IJLi1EEEEEEENS4_IJNSI_IJLi1ELi2EEEENSI_IJLi3ELi4EEEENSI_IJLi5EEEEEEENSI_IJLi3ELi5ELi4EEEElEENS3_INS4_IJNS5_IS6_NS4_IJiS8_EEELb0EEESE_SG_EEENS4_IJSJ_SL_SK_EEESQ_SR_lEENS3_INS4_IJSU_SG_SG_EEESW_NS4_IJSN_NSI_IJLi3EEEENSI_IJLi4EEEEEEESO_lEELi128ELi128ELi16ELi2ELi4ELi4ELi1ENSI_IJLi8ELi2EEEES13_NSI_IJLi2ELi1ELi4ELi2EEEENSI_IJLi8ELi1ELi32ELi1EEEENSI_IJLi0ELi3ELi1ELi2EEEES16_NSI_IJLi1ELi1ELi4ELi1EEEES16_NSI_IJLi1ELi1ELi4ELi2EEEES14_S15_S16_S16_S17_S16_S18_NSI_IJLi0ELi1ELi2ELi3ELi4ELi5EEEELi5ELi4EEEDF16_DF16_NS3_INS4_IJSA_SE_SG_SG_NSB_INS4_IJiNS7_IiLi128EEEEEELb0EEENSF_ISC_EEEEENS4_IJSJ_SK_SL_SZ_SP_S10_EEENS4_IJSN_SO_SP_NSI_IJLi6EEEENSI_IJLi7ELi8EEEENSI_IJLi9EEEEEEENSI_IJLi6ELi7ELi8ELi9EEEElEENS3_INS4_IJSU_SE_SG_SG_S1D_S1E_EEENS4_IJSJ_SL_SK_SZ_SP_S10_EEES1K_S1L_lEENS3_INS4_IJSU_SG_SG_NSB_INS4_IJiSC_NS7_IiLi64EEEEEELb0EEES1S_EEENS4_IJSJ_SL_SK_SZ_S10_EEENS4_IJSN_SZ_S10_NSI_IJLi5ELi6ELi7EEEENSI_IJLi8ELi9ELi10EEEEEEENSI_IJLi5ELi6ELi7ELi8ELi9ELi10EEEElEENS_31BlockToCTileMap_M00_N00_M01_N01ILi128ELi128ES12_Lb0EEELb0ELb0EEEvPKT0_S24_PT1_T2_T3_T4_T5_,comdat
.Lfunc_end4:
	.size	_ZN2ck19kernel_gemm_dl_v1r3INS_28GridwiseGemmDl_km_kn_mn_v1r3ILi256EDF16_fDF16_LNS_25InMemoryDataOperationEnumE0ENS_16TensorDescriptorINS_5TupleIJNS_5EmbedINS4_IJiiEEENS4_IJNS_17integral_constantIiLi1EEEiEEELb0EEENS_7UnMergeINS4_IJiNS7_IiLi2EEEEEELb0EEENS_11PassThroughIiEEEEENS4_IJNS_8SequenceIJLi0EEEENSI_IJLi2EEEENSI_IJLi1EEEEEEENS4_IJNSI_IJLi1ELi2EEEENSI_IJLi3ELi4EEEENSI_IJLi5EEEEEEENSI_IJLi3ELi5ELi4EEEElEENS3_INS4_IJNS5_IS6_NS4_IJiS8_EEELb0EEESE_SG_EEENS4_IJSJ_SL_SK_EEESQ_SR_lEENS3_INS4_IJSU_SG_SG_EEESW_NS4_IJSN_NSI_IJLi3EEEENSI_IJLi4EEEEEEESO_lEELi128ELi128ELi16ELi2ELi4ELi4ELi1ENSI_IJLi8ELi2EEEES13_NSI_IJLi2ELi1ELi4ELi2EEEENSI_IJLi8ELi1ELi32ELi1EEEENSI_IJLi0ELi3ELi1ELi2EEEES16_NSI_IJLi1ELi1ELi4ELi1EEEES16_NSI_IJLi1ELi1ELi4ELi2EEEES14_S15_S16_S16_S17_S16_S18_NSI_IJLi0ELi1ELi2ELi3ELi4ELi5EEEELi5ELi4EEEDF16_DF16_NS3_INS4_IJSA_SE_SG_SG_NSB_INS4_IJiNS7_IiLi128EEEEEELb0EEENSF_ISC_EEEEENS4_IJSJ_SK_SL_SZ_SP_S10_EEENS4_IJSN_SO_SP_NSI_IJLi6EEEENSI_IJLi7ELi8EEEENSI_IJLi9EEEEEEENSI_IJLi6ELi7ELi8ELi9EEEElEENS3_INS4_IJSU_SE_SG_SG_S1D_S1E_EEENS4_IJSJ_SL_SK_SZ_SP_S10_EEES1K_S1L_lEENS3_INS4_IJSU_SG_SG_NSB_INS4_IJiSC_NS7_IiLi64EEEEEELb0EEES1S_EEENS4_IJSJ_SL_SK_SZ_S10_EEENS4_IJSN_SZ_S10_NSI_IJLi5ELi6ELi7EEEENSI_IJLi8ELi9ELi10EEEEEEENSI_IJLi5ELi6ELi7ELi8ELi9ELi10EEEElEENS_31BlockToCTileMap_M00_N00_M01_N01ILi128ELi128ES12_Lb0EEELb0ELb0EEEvPKT0_S24_PT1_T2_T3_T4_T5_, .Lfunc_end4-_ZN2ck19kernel_gemm_dl_v1r3INS_28GridwiseGemmDl_km_kn_mn_v1r3ILi256EDF16_fDF16_LNS_25InMemoryDataOperationEnumE0ENS_16TensorDescriptorINS_5TupleIJNS_5EmbedINS4_IJiiEEENS4_IJNS_17integral_constantIiLi1EEEiEEELb0EEENS_7UnMergeINS4_IJiNS7_IiLi2EEEEEELb0EEENS_11PassThroughIiEEEEENS4_IJNS_8SequenceIJLi0EEEENSI_IJLi2EEEENSI_IJLi1EEEEEEENS4_IJNSI_IJLi1ELi2EEEENSI_IJLi3ELi4EEEENSI_IJLi5EEEEEEENSI_IJLi3ELi5ELi4EEEElEENS3_INS4_IJNS5_IS6_NS4_IJiS8_EEELb0EEESE_SG_EEENS4_IJSJ_SL_SK_EEESQ_SR_lEENS3_INS4_IJSU_SG_SG_EEESW_NS4_IJSN_NSI_IJLi3EEEENSI_IJLi4EEEEEEESO_lEELi128ELi128ELi16ELi2ELi4ELi4ELi1ENSI_IJLi8ELi2EEEES13_NSI_IJLi2ELi1ELi4ELi2EEEENSI_IJLi8ELi1ELi32ELi1EEEENSI_IJLi0ELi3ELi1ELi2EEEES16_NSI_IJLi1ELi1ELi4ELi1EEEES16_NSI_IJLi1ELi1ELi4ELi2EEEES14_S15_S16_S16_S17_S16_S18_NSI_IJLi0ELi1ELi2ELi3ELi4ELi5EEEELi5ELi4EEEDF16_DF16_NS3_INS4_IJSA_SE_SG_SG_NSB_INS4_IJiNS7_IiLi128EEEEEELb0EEENSF_ISC_EEEEENS4_IJSJ_SK_SL_SZ_SP_S10_EEENS4_IJSN_SO_SP_NSI_IJLi6EEEENSI_IJLi7ELi8EEEENSI_IJLi9EEEEEEENSI_IJLi6ELi7ELi8ELi9EEEElEENS3_INS4_IJSU_SE_SG_SG_S1D_S1E_EEENS4_IJSJ_SL_SK_SZ_SP_S10_EEES1K_S1L_lEENS3_INS4_IJSU_SG_SG_NSB_INS4_IJiSC_NS7_IiLi64EEEEEELb0EEES1S_EEENS4_IJSJ_SL_SK_SZ_S10_EEENS4_IJSN_SZ_S10_NSI_IJLi5ELi6ELi7EEEENSI_IJLi8ELi9ELi10EEEEEEENSI_IJLi5ELi6ELi7ELi8ELi9ELi10EEEElEENS_31BlockToCTileMap_M00_N00_M01_N01ILi128ELi128ES12_Lb0EEELb0ELb0EEEvPKT0_S24_PT1_T2_T3_T4_T5_
                                        ; -- End function
	.section	.AMDGPU.csdata,"",@progbits
; Kernel info:
; codeLenInByte = 6672
; NumSgprs: 28
; NumVgprs: 136
; ScratchSize: 0
; MemoryBound: 0
; FloatMode: 240
; IeeeMode: 1
; LDSByteSize: 32768 bytes/workgroup (compile time only)
; SGPRBlocks: 3
; VGPRBlocks: 16
; NumSGPRsForWavesPerEU: 28
; NumVGPRsForWavesPerEU: 136
; Occupancy: 8
; WaveLimiterHint : 0
; COMPUTE_PGM_RSRC2:SCRATCH_EN: 0
; COMPUTE_PGM_RSRC2:USER_SGPR: 15
; COMPUTE_PGM_RSRC2:TRAP_HANDLER: 0
; COMPUTE_PGM_RSRC2:TGID_X_EN: 1
; COMPUTE_PGM_RSRC2:TGID_Y_EN: 0
; COMPUTE_PGM_RSRC2:TGID_Z_EN: 0
; COMPUTE_PGM_RSRC2:TIDIG_COMP_CNT: 0
	.section	.text._ZN2ck17naive_gemm_kernelINS_13tensor_layout4gemm11ColumnMajorENS2_8RowMajorES4_DF16_DF16_DF16_fNS_16tensor_operation12element_wise11PassThroughES7_S7_DF16_DF16_EEvPKT2_PKT3_PT4_iiiT6_T7_T8_,"axG",@progbits,_ZN2ck17naive_gemm_kernelINS_13tensor_layout4gemm11ColumnMajorENS2_8RowMajorES4_DF16_DF16_DF16_fNS_16tensor_operation12element_wise11PassThroughES7_S7_DF16_DF16_EEvPKT2_PKT3_PT4_iiiT6_T7_T8_,comdat
	.protected	_ZN2ck17naive_gemm_kernelINS_13tensor_layout4gemm11ColumnMajorENS2_8RowMajorES4_DF16_DF16_DF16_fNS_16tensor_operation12element_wise11PassThroughES7_S7_DF16_DF16_EEvPKT2_PKT3_PT4_iiiT6_T7_T8_ ; -- Begin function _ZN2ck17naive_gemm_kernelINS_13tensor_layout4gemm11ColumnMajorENS2_8RowMajorES4_DF16_DF16_DF16_fNS_16tensor_operation12element_wise11PassThroughES7_S7_DF16_DF16_EEvPKT2_PKT3_PT4_iiiT6_T7_T8_
	.globl	_ZN2ck17naive_gemm_kernelINS_13tensor_layout4gemm11ColumnMajorENS2_8RowMajorES4_DF16_DF16_DF16_fNS_16tensor_operation12element_wise11PassThroughES7_S7_DF16_DF16_EEvPKT2_PKT3_PT4_iiiT6_T7_T8_
	.p2align	8
	.type	_ZN2ck17naive_gemm_kernelINS_13tensor_layout4gemm11ColumnMajorENS2_8RowMajorES4_DF16_DF16_DF16_fNS_16tensor_operation12element_wise11PassThroughES7_S7_DF16_DF16_EEvPKT2_PKT3_PT4_iiiT6_T7_T8_,@function
_ZN2ck17naive_gemm_kernelINS_13tensor_layout4gemm11ColumnMajorENS2_8RowMajorES4_DF16_DF16_DF16_fNS_16tensor_operation12element_wise11PassThroughES7_S7_DF16_DF16_EEvPKT2_PKT3_PT4_iiiT6_T7_T8_: ; @_ZN2ck17naive_gemm_kernelINS_13tensor_layout4gemm11ColumnMajorENS2_8RowMajorES4_DF16_DF16_DF16_fNS_16tensor_operation12element_wise11PassThroughES7_S7_DF16_DF16_EEvPKT2_PKT3_PT4_iiiT6_T7_T8_
; %bb.0:
	s_clause 0x1
	s_load_b32 s2, s[0:1], 0x34
	s_load_b128 s[4:7], s[0:1], 0x18
	v_and_b32_e32 v2, 0x3ff, v0
	v_bfe_u32 v3, v0, 10, 10
	s_waitcnt lgkmcnt(0)
	s_lshr_b32 s3, s2, 16
	s_and_b32 s2, s2, 0xffff
	s_delay_alu instid0(VALU_DEP_1) | instid1(SALU_CYCLE_1)
	v_mad_u64_u32 v[0:1], null, s14, s2, v[2:3]
	v_mad_u64_u32 v[1:2], null, s15, s3, v[3:4]
	s_delay_alu instid0(VALU_DEP_2) | instskip(NEXT) | instid1(VALU_DEP_2)
	v_cmp_gt_i32_e32 vcc_lo, s4, v0
	v_cmp_gt_i32_e64 s2, s5, v1
	s_delay_alu instid0(VALU_DEP_1) | instskip(NEXT) | instid1(SALU_CYCLE_1)
	s_and_b32 s2, vcc_lo, s2
	s_and_saveexec_b32 s3, s2
	s_cbranch_execz .LBB5_7
; %bb.1:
	s_load_b64 s[8:9], s[0:1], 0x10
	s_cmp_lt_i32 s6, 1
	s_cbranch_scc1 .LBB5_5
; %bb.2:
	s_load_b128 s[0:3], s[0:1], 0x0
	v_mov_b32_e32 v6, 0
	v_mov_b32_e32 v2, v0
	;; [unrolled: 1-line block ×3, first 2 shown]
	.p2align	6
.LBB5_3:                                ; =>This Inner Loop Header: Depth=1
	s_delay_alu instid0(VALU_DEP_2) | instskip(NEXT) | instid1(VALU_DEP_2)
	v_ashrrev_i32_e32 v3, 31, v2
	v_ashrrev_i32_e32 v5, 31, v4
	s_add_i32 s6, s6, -1
	s_delay_alu instid0(SALU_CYCLE_1) | instskip(NEXT) | instid1(VALU_DEP_2)
	s_cmp_eq_u32 s6, 0
	v_lshlrev_b64 v[7:8], 1, v[2:3]
	s_delay_alu instid0(VALU_DEP_2) | instskip(SKIP_3) | instid1(VALU_DEP_4)
	v_lshlrev_b64 v[9:10], 1, v[4:5]
	v_add_nc_u32_e32 v4, s5, v4
	v_add_nc_u32_e32 v2, s4, v2
	s_waitcnt lgkmcnt(0)
	v_add_co_u32 v7, vcc_lo, s0, v7
	v_add_co_ci_u32_e32 v8, vcc_lo, s1, v8, vcc_lo
	v_add_co_u32 v9, vcc_lo, s2, v9
	v_add_co_ci_u32_e32 v10, vcc_lo, s3, v10, vcc_lo
	global_load_u16 v3, v[7:8], off
	global_load_u16 v5, v[9:10], off
	s_waitcnt vmcnt(0)
	v_fma_mix_f32 v6, v3, v5, v6 op_sel_hi:[1,1,0]
	s_cbranch_scc0 .LBB5_3
; %bb.4:
	s_delay_alu instid0(VALU_DEP_1)
	v_cvt_f16_f32_e32 v2, v6
	s_branch .LBB5_6
.LBB5_5:
	v_mov_b32_e32 v2, 0
.LBB5_6:
	s_delay_alu instid0(VALU_DEP_1) | instskip(NEXT) | instid1(VALU_DEP_1)
	v_mad_u64_u32 v[3:4], null, v0, s5, v[1:2]
	v_ashrrev_i32_e32 v4, 31, v3
	s_delay_alu instid0(VALU_DEP_1) | instskip(SKIP_1) | instid1(VALU_DEP_1)
	v_lshlrev_b64 v[0:1], 1, v[3:4]
	s_waitcnt lgkmcnt(0)
	v_add_co_u32 v0, vcc_lo, s8, v0
	s_delay_alu instid0(VALU_DEP_2)
	v_add_co_ci_u32_e32 v1, vcc_lo, s9, v1, vcc_lo
	global_store_b16 v[0:1], v2, off
.LBB5_7:
	s_nop 0
	s_sendmsg sendmsg(MSG_DEALLOC_VGPRS)
	s_endpgm
	.section	.rodata,"a",@progbits
	.p2align	6, 0x0
	.amdhsa_kernel _ZN2ck17naive_gemm_kernelINS_13tensor_layout4gemm11ColumnMajorENS2_8RowMajorES4_DF16_DF16_DF16_fNS_16tensor_operation12element_wise11PassThroughES7_S7_DF16_DF16_EEvPKT2_PKT3_PT4_iiiT6_T7_T8_
		.amdhsa_group_segment_fixed_size 0
		.amdhsa_private_segment_fixed_size 0
		.amdhsa_kernarg_size 296
		.amdhsa_user_sgpr_count 14
		.amdhsa_user_sgpr_dispatch_ptr 0
		.amdhsa_user_sgpr_queue_ptr 0
		.amdhsa_user_sgpr_kernarg_segment_ptr 1
		.amdhsa_user_sgpr_dispatch_id 0
		.amdhsa_user_sgpr_private_segment_size 0
		.amdhsa_wavefront_size32 1
		.amdhsa_uses_dynamic_stack 0
		.amdhsa_enable_private_segment 0
		.amdhsa_system_sgpr_workgroup_id_x 1
		.amdhsa_system_sgpr_workgroup_id_y 1
		.amdhsa_system_sgpr_workgroup_id_z 0
		.amdhsa_system_sgpr_workgroup_info 0
		.amdhsa_system_vgpr_workitem_id 1
		.amdhsa_next_free_vgpr 11
		.amdhsa_next_free_sgpr 16
		.amdhsa_reserve_vcc 1
		.amdhsa_float_round_mode_32 0
		.amdhsa_float_round_mode_16_64 0
		.amdhsa_float_denorm_mode_32 3
		.amdhsa_float_denorm_mode_16_64 3
		.amdhsa_dx10_clamp 1
		.amdhsa_ieee_mode 1
		.amdhsa_fp16_overflow 0
		.amdhsa_workgroup_processor_mode 1
		.amdhsa_memory_ordered 1
		.amdhsa_forward_progress 0
		.amdhsa_shared_vgpr_count 0
		.amdhsa_exception_fp_ieee_invalid_op 0
		.amdhsa_exception_fp_denorm_src 0
		.amdhsa_exception_fp_ieee_div_zero 0
		.amdhsa_exception_fp_ieee_overflow 0
		.amdhsa_exception_fp_ieee_underflow 0
		.amdhsa_exception_fp_ieee_inexact 0
		.amdhsa_exception_int_div_zero 0
	.end_amdhsa_kernel
	.section	.text._ZN2ck17naive_gemm_kernelINS_13tensor_layout4gemm11ColumnMajorENS2_8RowMajorES4_DF16_DF16_DF16_fNS_16tensor_operation12element_wise11PassThroughES7_S7_DF16_DF16_EEvPKT2_PKT3_PT4_iiiT6_T7_T8_,"axG",@progbits,_ZN2ck17naive_gemm_kernelINS_13tensor_layout4gemm11ColumnMajorENS2_8RowMajorES4_DF16_DF16_DF16_fNS_16tensor_operation12element_wise11PassThroughES7_S7_DF16_DF16_EEvPKT2_PKT3_PT4_iiiT6_T7_T8_,comdat
.Lfunc_end5:
	.size	_ZN2ck17naive_gemm_kernelINS_13tensor_layout4gemm11ColumnMajorENS2_8RowMajorES4_DF16_DF16_DF16_fNS_16tensor_operation12element_wise11PassThroughES7_S7_DF16_DF16_EEvPKT2_PKT3_PT4_iiiT6_T7_T8_, .Lfunc_end5-_ZN2ck17naive_gemm_kernelINS_13tensor_layout4gemm11ColumnMajorENS2_8RowMajorES4_DF16_DF16_DF16_fNS_16tensor_operation12element_wise11PassThroughES7_S7_DF16_DF16_EEvPKT2_PKT3_PT4_iiiT6_T7_T8_
                                        ; -- End function
	.section	.AMDGPU.csdata,"",@progbits
; Kernel info:
; codeLenInByte = 336
; NumSgprs: 18
; NumVgprs: 11
; ScratchSize: 0
; MemoryBound: 0
; FloatMode: 240
; IeeeMode: 1
; LDSByteSize: 0 bytes/workgroup (compile time only)
; SGPRBlocks: 2
; VGPRBlocks: 1
; NumSGPRsForWavesPerEU: 18
; NumVGPRsForWavesPerEU: 11
; Occupancy: 16
; WaveLimiterHint : 0
; COMPUTE_PGM_RSRC2:SCRATCH_EN: 0
; COMPUTE_PGM_RSRC2:USER_SGPR: 14
; COMPUTE_PGM_RSRC2:TRAP_HANDLER: 0
; COMPUTE_PGM_RSRC2:TGID_X_EN: 1
; COMPUTE_PGM_RSRC2:TGID_Y_EN: 1
; COMPUTE_PGM_RSRC2:TGID_Z_EN: 0
; COMPUTE_PGM_RSRC2:TIDIG_COMP_CNT: 1
	.text
	.p2alignl 7, 3214868480
	.fill 96, 4, 3214868480
	.type	__hip_cuid_d5c2b7b22ee9f481,@object ; @__hip_cuid_d5c2b7b22ee9f481
	.section	.bss,"aw",@nobits
	.globl	__hip_cuid_d5c2b7b22ee9f481
__hip_cuid_d5c2b7b22ee9f481:
	.byte	0                               ; 0x0
	.size	__hip_cuid_d5c2b7b22ee9f481, 1

	.ident	"AMD clang version 19.0.0git (https://github.com/RadeonOpenCompute/llvm-project roc-6.4.0 25133 c7fe45cf4b819c5991fe208aaa96edf142730f1d)"
	.section	".note.GNU-stack","",@progbits
	.addrsig
	.addrsig_sym __hip_cuid_d5c2b7b22ee9f481
	.amdgpu_metadata
---
amdhsa.kernels:
  - .args:           []
    .group_segment_fixed_size: 0
    .kernarg_segment_align: 4
    .kernarg_segment_size: 0
    .language:       OpenCL C
    .language_version:
      - 2
      - 0
    .max_flat_workgroup_size: 1024
    .name:           _ZN2ckL12flush_icacheEv
    .private_segment_fixed_size: 0
    .sgpr_count:     0
    .sgpr_spill_count: 0
    .symbol:         _ZN2ckL12flush_icacheEv.kd
    .uniform_work_group_size: 1
    .uses_dynamic_stack: false
    .vgpr_count:     0
    .vgpr_spill_count: 0
    .wavefront_size: 32
    .workgroup_processor_mode: 1
  - .args:
      - .address_space:  global
        .offset:         0
        .size:           8
        .value_kind:     global_buffer
      - .address_space:  global
        .offset:         8
        .size:           8
        .value_kind:     global_buffer
      - .address_space:  global
        .offset:         16
        .size:           8
        .value_kind:     global_buffer
      - .offset:         24
        .size:           64
        .value_kind:     by_value
      - .offset:         88
        .size:           64
        .value_kind:     by_value
      - .offset:         152
        .size:           64
        .value_kind:     by_value
      - .offset:         216
        .size:           112
        .value_kind:     by_value
    .group_segment_fixed_size: 32768
    .kernarg_segment_align: 8
    .kernarg_segment_size: 328
    .language:       OpenCL C
    .language_version:
      - 2
      - 0
    .max_flat_workgroup_size: 256
    .name:           _ZN2ck19kernel_gemm_dl_v1r3INS_28GridwiseGemmDl_km_kn_mn_v1r3ILi256EDF16_fDF16_LNS_25InMemoryDataOperationEnumE0ENS_16TensorDescriptorINS_5TupleIJNS_5EmbedINS4_IJiiEEENS4_IJNS_17integral_constantIiLi1EEEiEEELb0EEENS_7UnMergeINS4_IJiNS7_IiLi2EEEEEELb0EEENS_11PassThroughIiEEEEENS4_IJNS_8SequenceIJLi0EEEENSI_IJLi2EEEENSI_IJLi1EEEEEEENS4_IJNSI_IJLi1ELi2EEEENSI_IJLi3ELi4EEEENSI_IJLi5EEEEEEENSI_IJLi3ELi5ELi4EEEElEENS3_INS4_IJNS5_IS6_NS4_IJiS8_EEELb0EEESE_SG_EEENS4_IJSJ_SL_SK_EEESQ_SR_lEENS3_INS4_IJSU_SG_SG_EEESW_NS4_IJSN_NSI_IJLi3EEEENSI_IJLi4EEEEEEESO_lEELi128ELi128ELi16ELi2ELi4ELi4ELi1ENSI_IJLi8ELi2EEEES13_NSI_IJLi2ELi1ELi4ELi2EEEENSI_IJLi8ELi1ELi32ELi1EEEENSI_IJLi0ELi3ELi1ELi2EEEES16_NSI_IJLi1ELi1ELi4ELi1EEEES16_NSI_IJLi1ELi1ELi4ELi2EEEES14_S15_S16_S16_S17_S16_S18_NSI_IJLi0ELi1ELi2ELi3ELi4ELi5EEEELi5ELi4EEEDF16_DF16_NS3_INS4_IJSA_SE_SG_SG_NSB_INS4_IJiNS7_IiLi128EEEEEELb0EEENSF_ISC_EEEEENS4_IJSJ_SK_SL_SZ_SP_S10_EEENS4_IJSN_SO_SP_NSI_IJLi6EEEENSI_IJLi7ELi8EEEENSI_IJLi9EEEEEEENSI_IJLi6ELi7ELi8ELi9EEEElEENS3_INS4_IJSU_SE_SG_SG_S1D_S1E_EEENS4_IJSJ_SL_SK_SZ_SP_S10_EEES1K_S1L_lEENS3_INS4_IJSU_SG_SG_NSB_INS4_IJiSC_NS7_IiLi64EEEEEELb0EEES1S_EEENS4_IJSJ_SL_SK_SZ_S10_EEENS4_IJSN_SZ_S10_NSI_IJLi5ELi6ELi7EEEENSI_IJLi8ELi9ELi10EEEEEEENSI_IJLi5ELi6ELi7ELi8ELi9ELi10EEEElEENS_31BlockToCTileMap_M00_N00_M01_N01ILi128ELi128ES12_Lb0EEELb1ELb1EEEvPKT0_S24_PT1_T2_T3_T4_T5_
    .private_segment_fixed_size: 0
    .sgpr_count:     41
    .sgpr_spill_count: 0
    .symbol:         _ZN2ck19kernel_gemm_dl_v1r3INS_28GridwiseGemmDl_km_kn_mn_v1r3ILi256EDF16_fDF16_LNS_25InMemoryDataOperationEnumE0ENS_16TensorDescriptorINS_5TupleIJNS_5EmbedINS4_IJiiEEENS4_IJNS_17integral_constantIiLi1EEEiEEELb0EEENS_7UnMergeINS4_IJiNS7_IiLi2EEEEEELb0EEENS_11PassThroughIiEEEEENS4_IJNS_8SequenceIJLi0EEEENSI_IJLi2EEEENSI_IJLi1EEEEEEENS4_IJNSI_IJLi1ELi2EEEENSI_IJLi3ELi4EEEENSI_IJLi5EEEEEEENSI_IJLi3ELi5ELi4EEEElEENS3_INS4_IJNS5_IS6_NS4_IJiS8_EEELb0EEESE_SG_EEENS4_IJSJ_SL_SK_EEESQ_SR_lEENS3_INS4_IJSU_SG_SG_EEESW_NS4_IJSN_NSI_IJLi3EEEENSI_IJLi4EEEEEEESO_lEELi128ELi128ELi16ELi2ELi4ELi4ELi1ENSI_IJLi8ELi2EEEES13_NSI_IJLi2ELi1ELi4ELi2EEEENSI_IJLi8ELi1ELi32ELi1EEEENSI_IJLi0ELi3ELi1ELi2EEEES16_NSI_IJLi1ELi1ELi4ELi1EEEES16_NSI_IJLi1ELi1ELi4ELi2EEEES14_S15_S16_S16_S17_S16_S18_NSI_IJLi0ELi1ELi2ELi3ELi4ELi5EEEELi5ELi4EEEDF16_DF16_NS3_INS4_IJSA_SE_SG_SG_NSB_INS4_IJiNS7_IiLi128EEEEEELb0EEENSF_ISC_EEEEENS4_IJSJ_SK_SL_SZ_SP_S10_EEENS4_IJSN_SO_SP_NSI_IJLi6EEEENSI_IJLi7ELi8EEEENSI_IJLi9EEEEEEENSI_IJLi6ELi7ELi8ELi9EEEElEENS3_INS4_IJSU_SE_SG_SG_S1D_S1E_EEENS4_IJSJ_SL_SK_SZ_SP_S10_EEES1K_S1L_lEENS3_INS4_IJSU_SG_SG_NSB_INS4_IJiSC_NS7_IiLi64EEEEEELb0EEES1S_EEENS4_IJSJ_SL_SK_SZ_S10_EEENS4_IJSN_SZ_S10_NSI_IJLi5ELi6ELi7EEEENSI_IJLi8ELi9ELi10EEEEEEENSI_IJLi5ELi6ELi7ELi8ELi9ELi10EEEElEENS_31BlockToCTileMap_M00_N00_M01_N01ILi128ELi128ES12_Lb0EEELb1ELb1EEEvPKT0_S24_PT1_T2_T3_T4_T5_.kd
    .uniform_work_group_size: 1
    .uses_dynamic_stack: false
    .vgpr_count:     193
    .vgpr_spill_count: 0
    .wavefront_size: 32
    .workgroup_processor_mode: 1
  - .args:
      - .address_space:  global
        .offset:         0
        .size:           8
        .value_kind:     global_buffer
      - .address_space:  global
        .offset:         8
        .size:           8
        .value_kind:     global_buffer
      - .address_space:  global
        .offset:         16
        .size:           8
        .value_kind:     global_buffer
      - .offset:         24
        .size:           64
        .value_kind:     by_value
      - .offset:         88
        .size:           64
        .value_kind:     by_value
      - .offset:         152
        .size:           64
        .value_kind:     by_value
      - .offset:         216
        .size:           112
        .value_kind:     by_value
    .group_segment_fixed_size: 32768
    .kernarg_segment_align: 8
    .kernarg_segment_size: 328
    .language:       OpenCL C
    .language_version:
      - 2
      - 0
    .max_flat_workgroup_size: 256
    .name:           _ZN2ck19kernel_gemm_dl_v1r3INS_28GridwiseGemmDl_km_kn_mn_v1r3ILi256EDF16_fDF16_LNS_25InMemoryDataOperationEnumE0ENS_16TensorDescriptorINS_5TupleIJNS_5EmbedINS4_IJiiEEENS4_IJNS_17integral_constantIiLi1EEEiEEELb0EEENS_7UnMergeINS4_IJiNS7_IiLi2EEEEEELb0EEENS_11PassThroughIiEEEEENS4_IJNS_8SequenceIJLi0EEEENSI_IJLi2EEEENSI_IJLi1EEEEEEENS4_IJNSI_IJLi1ELi2EEEENSI_IJLi3ELi4EEEENSI_IJLi5EEEEEEENSI_IJLi3ELi5ELi4EEEElEENS3_INS4_IJNS5_IS6_NS4_IJiS8_EEELb0EEESE_SG_EEENS4_IJSJ_SL_SK_EEESQ_SR_lEENS3_INS4_IJSU_SG_SG_EEESW_NS4_IJSN_NSI_IJLi3EEEENSI_IJLi4EEEEEEESO_lEELi128ELi128ELi16ELi2ELi4ELi4ELi1ENSI_IJLi8ELi2EEEES13_NSI_IJLi2ELi1ELi4ELi2EEEENSI_IJLi8ELi1ELi32ELi1EEEENSI_IJLi0ELi3ELi1ELi2EEEES16_NSI_IJLi1ELi1ELi4ELi1EEEES16_NSI_IJLi1ELi1ELi4ELi2EEEES14_S15_S16_S16_S17_S16_S18_NSI_IJLi0ELi1ELi2ELi3ELi4ELi5EEEELi5ELi4EEEDF16_DF16_NS3_INS4_IJSA_SE_SG_SG_NSB_INS4_IJiNS7_IiLi128EEEEEELb0EEENSF_ISC_EEEEENS4_IJSJ_SK_SL_SZ_SP_S10_EEENS4_IJSN_SO_SP_NSI_IJLi6EEEENSI_IJLi7ELi8EEEENSI_IJLi9EEEEEEENSI_IJLi6ELi7ELi8ELi9EEEElEENS3_INS4_IJSU_SE_SG_SG_S1D_S1E_EEENS4_IJSJ_SL_SK_SZ_SP_S10_EEES1K_S1L_lEENS3_INS4_IJSU_SG_SG_NSB_INS4_IJiSC_NS7_IiLi64EEEEEELb0EEES1S_EEENS4_IJSJ_SL_SK_SZ_S10_EEENS4_IJSN_SZ_S10_NSI_IJLi5ELi6ELi7EEEENSI_IJLi8ELi9ELi10EEEEEEENSI_IJLi5ELi6ELi7ELi8ELi9ELi10EEEElEENS_31BlockToCTileMap_M00_N00_M01_N01ILi128ELi128ES12_Lb0EEELb1ELb0EEEvPKT0_S24_PT1_T2_T3_T4_T5_
    .private_segment_fixed_size: 0
    .sgpr_count:     37
    .sgpr_spill_count: 0
    .symbol:         _ZN2ck19kernel_gemm_dl_v1r3INS_28GridwiseGemmDl_km_kn_mn_v1r3ILi256EDF16_fDF16_LNS_25InMemoryDataOperationEnumE0ENS_16TensorDescriptorINS_5TupleIJNS_5EmbedINS4_IJiiEEENS4_IJNS_17integral_constantIiLi1EEEiEEELb0EEENS_7UnMergeINS4_IJiNS7_IiLi2EEEEEELb0EEENS_11PassThroughIiEEEEENS4_IJNS_8SequenceIJLi0EEEENSI_IJLi2EEEENSI_IJLi1EEEEEEENS4_IJNSI_IJLi1ELi2EEEENSI_IJLi3ELi4EEEENSI_IJLi5EEEEEEENSI_IJLi3ELi5ELi4EEEElEENS3_INS4_IJNS5_IS6_NS4_IJiS8_EEELb0EEESE_SG_EEENS4_IJSJ_SL_SK_EEESQ_SR_lEENS3_INS4_IJSU_SG_SG_EEESW_NS4_IJSN_NSI_IJLi3EEEENSI_IJLi4EEEEEEESO_lEELi128ELi128ELi16ELi2ELi4ELi4ELi1ENSI_IJLi8ELi2EEEES13_NSI_IJLi2ELi1ELi4ELi2EEEENSI_IJLi8ELi1ELi32ELi1EEEENSI_IJLi0ELi3ELi1ELi2EEEES16_NSI_IJLi1ELi1ELi4ELi1EEEES16_NSI_IJLi1ELi1ELi4ELi2EEEES14_S15_S16_S16_S17_S16_S18_NSI_IJLi0ELi1ELi2ELi3ELi4ELi5EEEELi5ELi4EEEDF16_DF16_NS3_INS4_IJSA_SE_SG_SG_NSB_INS4_IJiNS7_IiLi128EEEEEELb0EEENSF_ISC_EEEEENS4_IJSJ_SK_SL_SZ_SP_S10_EEENS4_IJSN_SO_SP_NSI_IJLi6EEEENSI_IJLi7ELi8EEEENSI_IJLi9EEEEEEENSI_IJLi6ELi7ELi8ELi9EEEElEENS3_INS4_IJSU_SE_SG_SG_S1D_S1E_EEENS4_IJSJ_SL_SK_SZ_SP_S10_EEES1K_S1L_lEENS3_INS4_IJSU_SG_SG_NSB_INS4_IJiSC_NS7_IiLi64EEEEEELb0EEES1S_EEENS4_IJSJ_SL_SK_SZ_S10_EEENS4_IJSN_SZ_S10_NSI_IJLi5ELi6ELi7EEEENSI_IJLi8ELi9ELi10EEEEEEENSI_IJLi5ELi6ELi7ELi8ELi9ELi10EEEElEENS_31BlockToCTileMap_M00_N00_M01_N01ILi128ELi128ES12_Lb0EEELb1ELb0EEEvPKT0_S24_PT1_T2_T3_T4_T5_.kd
    .uniform_work_group_size: 1
    .uses_dynamic_stack: false
    .vgpr_count:     198
    .vgpr_spill_count: 0
    .wavefront_size: 32
    .workgroup_processor_mode: 1
  - .args:
      - .address_space:  global
        .offset:         0
        .size:           8
        .value_kind:     global_buffer
      - .address_space:  global
        .offset:         8
        .size:           8
        .value_kind:     global_buffer
      - .address_space:  global
        .offset:         16
        .size:           8
        .value_kind:     global_buffer
      - .offset:         24
        .size:           64
        .value_kind:     by_value
      - .offset:         88
        .size:           64
        .value_kind:     by_value
      - .offset:         152
        .size:           64
        .value_kind:     by_value
      - .offset:         216
        .size:           112
        .value_kind:     by_value
    .group_segment_fixed_size: 32768
    .kernarg_segment_align: 8
    .kernarg_segment_size: 328
    .language:       OpenCL C
    .language_version:
      - 2
      - 0
    .max_flat_workgroup_size: 256
    .name:           _ZN2ck19kernel_gemm_dl_v1r3INS_28GridwiseGemmDl_km_kn_mn_v1r3ILi256EDF16_fDF16_LNS_25InMemoryDataOperationEnumE0ENS_16TensorDescriptorINS_5TupleIJNS_5EmbedINS4_IJiiEEENS4_IJNS_17integral_constantIiLi1EEEiEEELb0EEENS_7UnMergeINS4_IJiNS7_IiLi2EEEEEELb0EEENS_11PassThroughIiEEEEENS4_IJNS_8SequenceIJLi0EEEENSI_IJLi2EEEENSI_IJLi1EEEEEEENS4_IJNSI_IJLi1ELi2EEEENSI_IJLi3ELi4EEEENSI_IJLi5EEEEEEENSI_IJLi3ELi5ELi4EEEElEENS3_INS4_IJNS5_IS6_NS4_IJiS8_EEELb0EEESE_SG_EEENS4_IJSJ_SL_SK_EEESQ_SR_lEENS3_INS4_IJSU_SG_SG_EEESW_NS4_IJSN_NSI_IJLi3EEEENSI_IJLi4EEEEEEESO_lEELi128ELi128ELi16ELi2ELi4ELi4ELi1ENSI_IJLi8ELi2EEEES13_NSI_IJLi2ELi1ELi4ELi2EEEENSI_IJLi8ELi1ELi32ELi1EEEENSI_IJLi0ELi3ELi1ELi2EEEES16_NSI_IJLi1ELi1ELi4ELi1EEEES16_NSI_IJLi1ELi1ELi4ELi2EEEES14_S15_S16_S16_S17_S16_S18_NSI_IJLi0ELi1ELi2ELi3ELi4ELi5EEEELi5ELi4EEEDF16_DF16_NS3_INS4_IJSA_SE_SG_SG_NSB_INS4_IJiNS7_IiLi128EEEEEELb0EEENSF_ISC_EEEEENS4_IJSJ_SK_SL_SZ_SP_S10_EEENS4_IJSN_SO_SP_NSI_IJLi6EEEENSI_IJLi7ELi8EEEENSI_IJLi9EEEEEEENSI_IJLi6ELi7ELi8ELi9EEEElEENS3_INS4_IJSU_SE_SG_SG_S1D_S1E_EEENS4_IJSJ_SL_SK_SZ_SP_S10_EEES1K_S1L_lEENS3_INS4_IJSU_SG_SG_NSB_INS4_IJiSC_NS7_IiLi64EEEEEELb0EEES1S_EEENS4_IJSJ_SL_SK_SZ_S10_EEENS4_IJSN_SZ_S10_NSI_IJLi5ELi6ELi7EEEENSI_IJLi8ELi9ELi10EEEEEEENSI_IJLi5ELi6ELi7ELi8ELi9ELi10EEEElEENS_31BlockToCTileMap_M00_N00_M01_N01ILi128ELi128ES12_Lb0EEELb0ELb1EEEvPKT0_S24_PT1_T2_T3_T4_T5_
    .private_segment_fixed_size: 0
    .sgpr_count:     29
    .sgpr_spill_count: 0
    .symbol:         _ZN2ck19kernel_gemm_dl_v1r3INS_28GridwiseGemmDl_km_kn_mn_v1r3ILi256EDF16_fDF16_LNS_25InMemoryDataOperationEnumE0ENS_16TensorDescriptorINS_5TupleIJNS_5EmbedINS4_IJiiEEENS4_IJNS_17integral_constantIiLi1EEEiEEELb0EEENS_7UnMergeINS4_IJiNS7_IiLi2EEEEEELb0EEENS_11PassThroughIiEEEEENS4_IJNS_8SequenceIJLi0EEEENSI_IJLi2EEEENSI_IJLi1EEEEEEENS4_IJNSI_IJLi1ELi2EEEENSI_IJLi3ELi4EEEENSI_IJLi5EEEEEEENSI_IJLi3ELi5ELi4EEEElEENS3_INS4_IJNS5_IS6_NS4_IJiS8_EEELb0EEESE_SG_EEENS4_IJSJ_SL_SK_EEESQ_SR_lEENS3_INS4_IJSU_SG_SG_EEESW_NS4_IJSN_NSI_IJLi3EEEENSI_IJLi4EEEEEEESO_lEELi128ELi128ELi16ELi2ELi4ELi4ELi1ENSI_IJLi8ELi2EEEES13_NSI_IJLi2ELi1ELi4ELi2EEEENSI_IJLi8ELi1ELi32ELi1EEEENSI_IJLi0ELi3ELi1ELi2EEEES16_NSI_IJLi1ELi1ELi4ELi1EEEES16_NSI_IJLi1ELi1ELi4ELi2EEEES14_S15_S16_S16_S17_S16_S18_NSI_IJLi0ELi1ELi2ELi3ELi4ELi5EEEELi5ELi4EEEDF16_DF16_NS3_INS4_IJSA_SE_SG_SG_NSB_INS4_IJiNS7_IiLi128EEEEEELb0EEENSF_ISC_EEEEENS4_IJSJ_SK_SL_SZ_SP_S10_EEENS4_IJSN_SO_SP_NSI_IJLi6EEEENSI_IJLi7ELi8EEEENSI_IJLi9EEEEEEENSI_IJLi6ELi7ELi8ELi9EEEElEENS3_INS4_IJSU_SE_SG_SG_S1D_S1E_EEENS4_IJSJ_SL_SK_SZ_SP_S10_EEES1K_S1L_lEENS3_INS4_IJSU_SG_SG_NSB_INS4_IJiSC_NS7_IiLi64EEEEEELb0EEES1S_EEENS4_IJSJ_SL_SK_SZ_S10_EEENS4_IJSN_SZ_S10_NSI_IJLi5ELi6ELi7EEEENSI_IJLi8ELi9ELi10EEEEEEENSI_IJLi5ELi6ELi7ELi8ELi9ELi10EEEElEENS_31BlockToCTileMap_M00_N00_M01_N01ILi128ELi128ES12_Lb0EEELb0ELb1EEEvPKT0_S24_PT1_T2_T3_T4_T5_.kd
    .uniform_work_group_size: 1
    .uses_dynamic_stack: false
    .vgpr_count:     193
    .vgpr_spill_count: 0
    .wavefront_size: 32
    .workgroup_processor_mode: 1
  - .args:
      - .address_space:  global
        .offset:         0
        .size:           8
        .value_kind:     global_buffer
      - .address_space:  global
        .offset:         8
        .size:           8
        .value_kind:     global_buffer
      - .address_space:  global
        .offset:         16
        .size:           8
        .value_kind:     global_buffer
      - .offset:         24
        .size:           64
        .value_kind:     by_value
      - .offset:         88
        .size:           64
        .value_kind:     by_value
      - .offset:         152
        .size:           64
        .value_kind:     by_value
      - .offset:         216
        .size:           112
        .value_kind:     by_value
    .group_segment_fixed_size: 32768
    .kernarg_segment_align: 8
    .kernarg_segment_size: 328
    .language:       OpenCL C
    .language_version:
      - 2
      - 0
    .max_flat_workgroup_size: 256
    .name:           _ZN2ck19kernel_gemm_dl_v1r3INS_28GridwiseGemmDl_km_kn_mn_v1r3ILi256EDF16_fDF16_LNS_25InMemoryDataOperationEnumE0ENS_16TensorDescriptorINS_5TupleIJNS_5EmbedINS4_IJiiEEENS4_IJNS_17integral_constantIiLi1EEEiEEELb0EEENS_7UnMergeINS4_IJiNS7_IiLi2EEEEEELb0EEENS_11PassThroughIiEEEEENS4_IJNS_8SequenceIJLi0EEEENSI_IJLi2EEEENSI_IJLi1EEEEEEENS4_IJNSI_IJLi1ELi2EEEENSI_IJLi3ELi4EEEENSI_IJLi5EEEEEEENSI_IJLi3ELi5ELi4EEEElEENS3_INS4_IJNS5_IS6_NS4_IJiS8_EEELb0EEESE_SG_EEENS4_IJSJ_SL_SK_EEESQ_SR_lEENS3_INS4_IJSU_SG_SG_EEESW_NS4_IJSN_NSI_IJLi3EEEENSI_IJLi4EEEEEEESO_lEELi128ELi128ELi16ELi2ELi4ELi4ELi1ENSI_IJLi8ELi2EEEES13_NSI_IJLi2ELi1ELi4ELi2EEEENSI_IJLi8ELi1ELi32ELi1EEEENSI_IJLi0ELi3ELi1ELi2EEEES16_NSI_IJLi1ELi1ELi4ELi1EEEES16_NSI_IJLi1ELi1ELi4ELi2EEEES14_S15_S16_S16_S17_S16_S18_NSI_IJLi0ELi1ELi2ELi3ELi4ELi5EEEELi5ELi4EEEDF16_DF16_NS3_INS4_IJSA_SE_SG_SG_NSB_INS4_IJiNS7_IiLi128EEEEEELb0EEENSF_ISC_EEEEENS4_IJSJ_SK_SL_SZ_SP_S10_EEENS4_IJSN_SO_SP_NSI_IJLi6EEEENSI_IJLi7ELi8EEEENSI_IJLi9EEEEEEENSI_IJLi6ELi7ELi8ELi9EEEElEENS3_INS4_IJSU_SE_SG_SG_S1D_S1E_EEENS4_IJSJ_SL_SK_SZ_SP_S10_EEES1K_S1L_lEENS3_INS4_IJSU_SG_SG_NSB_INS4_IJiSC_NS7_IiLi64EEEEEELb0EEES1S_EEENS4_IJSJ_SL_SK_SZ_S10_EEENS4_IJSN_SZ_S10_NSI_IJLi5ELi6ELi7EEEENSI_IJLi8ELi9ELi10EEEEEEENSI_IJLi5ELi6ELi7ELi8ELi9ELi10EEEElEENS_31BlockToCTileMap_M00_N00_M01_N01ILi128ELi128ES12_Lb0EEELb0ELb0EEEvPKT0_S24_PT1_T2_T3_T4_T5_
    .private_segment_fixed_size: 0
    .sgpr_count:     28
    .sgpr_spill_count: 0
    .symbol:         _ZN2ck19kernel_gemm_dl_v1r3INS_28GridwiseGemmDl_km_kn_mn_v1r3ILi256EDF16_fDF16_LNS_25InMemoryDataOperationEnumE0ENS_16TensorDescriptorINS_5TupleIJNS_5EmbedINS4_IJiiEEENS4_IJNS_17integral_constantIiLi1EEEiEEELb0EEENS_7UnMergeINS4_IJiNS7_IiLi2EEEEEELb0EEENS_11PassThroughIiEEEEENS4_IJNS_8SequenceIJLi0EEEENSI_IJLi2EEEENSI_IJLi1EEEEEEENS4_IJNSI_IJLi1ELi2EEEENSI_IJLi3ELi4EEEENSI_IJLi5EEEEEEENSI_IJLi3ELi5ELi4EEEElEENS3_INS4_IJNS5_IS6_NS4_IJiS8_EEELb0EEESE_SG_EEENS4_IJSJ_SL_SK_EEESQ_SR_lEENS3_INS4_IJSU_SG_SG_EEESW_NS4_IJSN_NSI_IJLi3EEEENSI_IJLi4EEEEEEESO_lEELi128ELi128ELi16ELi2ELi4ELi4ELi1ENSI_IJLi8ELi2EEEES13_NSI_IJLi2ELi1ELi4ELi2EEEENSI_IJLi8ELi1ELi32ELi1EEEENSI_IJLi0ELi3ELi1ELi2EEEES16_NSI_IJLi1ELi1ELi4ELi1EEEES16_NSI_IJLi1ELi1ELi4ELi2EEEES14_S15_S16_S16_S17_S16_S18_NSI_IJLi0ELi1ELi2ELi3ELi4ELi5EEEELi5ELi4EEEDF16_DF16_NS3_INS4_IJSA_SE_SG_SG_NSB_INS4_IJiNS7_IiLi128EEEEEELb0EEENSF_ISC_EEEEENS4_IJSJ_SK_SL_SZ_SP_S10_EEENS4_IJSN_SO_SP_NSI_IJLi6EEEENSI_IJLi7ELi8EEEENSI_IJLi9EEEEEEENSI_IJLi6ELi7ELi8ELi9EEEElEENS3_INS4_IJSU_SE_SG_SG_S1D_S1E_EEENS4_IJSJ_SL_SK_SZ_SP_S10_EEES1K_S1L_lEENS3_INS4_IJSU_SG_SG_NSB_INS4_IJiSC_NS7_IiLi64EEEEEELb0EEES1S_EEENS4_IJSJ_SL_SK_SZ_S10_EEENS4_IJSN_SZ_S10_NSI_IJLi5ELi6ELi7EEEENSI_IJLi8ELi9ELi10EEEEEEENSI_IJLi5ELi6ELi7ELi8ELi9ELi10EEEElEENS_31BlockToCTileMap_M00_N00_M01_N01ILi128ELi128ES12_Lb0EEELb0ELb0EEEvPKT0_S24_PT1_T2_T3_T4_T5_.kd
    .uniform_work_group_size: 1
    .uses_dynamic_stack: false
    .vgpr_count:     136
    .vgpr_spill_count: 0
    .wavefront_size: 32
    .workgroup_processor_mode: 1
  - .args:
      - .actual_access:  read_only
        .address_space:  global
        .offset:         0
        .size:           8
        .value_kind:     global_buffer
      - .actual_access:  read_only
        .address_space:  global
        .offset:         8
        .size:           8
        .value_kind:     global_buffer
      - .actual_access:  write_only
        .address_space:  global
        .offset:         16
        .size:           8
        .value_kind:     global_buffer
      - .offset:         24
        .size:           4
        .value_kind:     by_value
      - .offset:         28
        .size:           4
        .value_kind:     by_value
      - .offset:         32
        .size:           4
        .value_kind:     by_value
      - .offset:         36
        .size:           1
        .value_kind:     by_value
      - .offset:         37
        .size:           1
        .value_kind:     by_value
      - .offset:         38
        .size:           1
        .value_kind:     by_value
      - .offset:         40
        .size:           4
        .value_kind:     hidden_block_count_x
      - .offset:         44
        .size:           4
        .value_kind:     hidden_block_count_y
      - .offset:         48
        .size:           4
        .value_kind:     hidden_block_count_z
      - .offset:         52
        .size:           2
        .value_kind:     hidden_group_size_x
      - .offset:         54
        .size:           2
        .value_kind:     hidden_group_size_y
      - .offset:         56
        .size:           2
        .value_kind:     hidden_group_size_z
      - .offset:         58
        .size:           2
        .value_kind:     hidden_remainder_x
      - .offset:         60
        .size:           2
        .value_kind:     hidden_remainder_y
      - .offset:         62
        .size:           2
        .value_kind:     hidden_remainder_z
      - .offset:         80
        .size:           8
        .value_kind:     hidden_global_offset_x
      - .offset:         88
        .size:           8
        .value_kind:     hidden_global_offset_y
      - .offset:         96
        .size:           8
        .value_kind:     hidden_global_offset_z
      - .offset:         104
        .size:           2
        .value_kind:     hidden_grid_dims
    .group_segment_fixed_size: 0
    .kernarg_segment_align: 8
    .kernarg_segment_size: 296
    .language:       OpenCL C
    .language_version:
      - 2
      - 0
    .max_flat_workgroup_size: 256
    .name:           _ZN2ck17naive_gemm_kernelINS_13tensor_layout4gemm11ColumnMajorENS2_8RowMajorES4_DF16_DF16_DF16_fNS_16tensor_operation12element_wise11PassThroughES7_S7_DF16_DF16_EEvPKT2_PKT3_PT4_iiiT6_T7_T8_
    .private_segment_fixed_size: 0
    .sgpr_count:     18
    .sgpr_spill_count: 0
    .symbol:         _ZN2ck17naive_gemm_kernelINS_13tensor_layout4gemm11ColumnMajorENS2_8RowMajorES4_DF16_DF16_DF16_fNS_16tensor_operation12element_wise11PassThroughES7_S7_DF16_DF16_EEvPKT2_PKT3_PT4_iiiT6_T7_T8_.kd
    .uniform_work_group_size: 1
    .uses_dynamic_stack: false
    .vgpr_count:     11
    .vgpr_spill_count: 0
    .wavefront_size: 32
    .workgroup_processor_mode: 1
amdhsa.target:   amdgcn-amd-amdhsa--gfx1100
amdhsa.version:
  - 1
  - 2
...

	.end_amdgpu_metadata
